;; amdgpu-corpus repo=ROCm/rocFFT kind=compiled arch=gfx906 opt=O3
	.text
	.amdgcn_target "amdgcn-amd-amdhsa--gfx906"
	.amdhsa_code_object_version 6
	.protected	fft_rtc_fwd_len850_factors_10_5_17_wgs_85_tpt_85_dp_ip_CI_unitstride_sbrr_dirReg ; -- Begin function fft_rtc_fwd_len850_factors_10_5_17_wgs_85_tpt_85_dp_ip_CI_unitstride_sbrr_dirReg
	.globl	fft_rtc_fwd_len850_factors_10_5_17_wgs_85_tpt_85_dp_ip_CI_unitstride_sbrr_dirReg
	.p2align	8
	.type	fft_rtc_fwd_len850_factors_10_5_17_wgs_85_tpt_85_dp_ip_CI_unitstride_sbrr_dirReg,@function
fft_rtc_fwd_len850_factors_10_5_17_wgs_85_tpt_85_dp_ip_CI_unitstride_sbrr_dirReg: ; @fft_rtc_fwd_len850_factors_10_5_17_wgs_85_tpt_85_dp_ip_CI_unitstride_sbrr_dirReg
; %bb.0:
	s_load_dwordx2 s[2:3], s[4:5], 0x50
	s_load_dwordx4 s[8:11], s[4:5], 0x0
	s_load_dwordx2 s[12:13], s[4:5], 0x18
	v_mul_u32_u24_e32 v1, 0x304, v0
	v_add_u32_sdwa v5, s6, v1 dst_sel:DWORD dst_unused:UNUSED_PAD src0_sel:DWORD src1_sel:WORD_1
	v_mov_b32_e32 v3, 0
	s_waitcnt lgkmcnt(0)
	v_cmp_lt_u64_e64 s[0:1], s[10:11], 2
	v_mov_b32_e32 v1, 0
	v_mov_b32_e32 v6, v3
	s_and_b64 vcc, exec, s[0:1]
	v_mov_b32_e32 v2, 0
	s_cbranch_vccnz .LBB0_8
; %bb.1:
	s_load_dwordx2 s[0:1], s[4:5], 0x10
	s_add_u32 s6, s12, 8
	s_addc_u32 s7, s13, 0
	v_mov_b32_e32 v1, 0
	v_mov_b32_e32 v2, 0
	s_waitcnt lgkmcnt(0)
	s_add_u32 s14, s0, 8
	s_addc_u32 s15, s1, 0
	s_mov_b64 s[16:17], 1
.LBB0_2:                                ; =>This Inner Loop Header: Depth=1
	s_load_dwordx2 s[18:19], s[14:15], 0x0
                                        ; implicit-def: $vgpr7_vgpr8
	s_waitcnt lgkmcnt(0)
	v_or_b32_e32 v4, s19, v6
	v_cmp_ne_u64_e32 vcc, 0, v[3:4]
	s_and_saveexec_b64 s[0:1], vcc
	s_xor_b64 s[20:21], exec, s[0:1]
	s_cbranch_execz .LBB0_4
; %bb.3:                                ;   in Loop: Header=BB0_2 Depth=1
	v_cvt_f32_u32_e32 v4, s18
	v_cvt_f32_u32_e32 v7, s19
	s_sub_u32 s0, 0, s18
	s_subb_u32 s1, 0, s19
	v_mac_f32_e32 v4, 0x4f800000, v7
	v_rcp_f32_e32 v4, v4
	v_mul_f32_e32 v4, 0x5f7ffffc, v4
	v_mul_f32_e32 v7, 0x2f800000, v4
	v_trunc_f32_e32 v7, v7
	v_mac_f32_e32 v4, 0xcf800000, v7
	v_cvt_u32_f32_e32 v7, v7
	v_cvt_u32_f32_e32 v4, v4
	v_mul_lo_u32 v8, s0, v7
	v_mul_hi_u32 v9, s0, v4
	v_mul_lo_u32 v11, s1, v4
	v_mul_lo_u32 v10, s0, v4
	v_add_u32_e32 v8, v9, v8
	v_add_u32_e32 v8, v8, v11
	v_mul_hi_u32 v9, v4, v10
	v_mul_lo_u32 v11, v4, v8
	v_mul_hi_u32 v13, v4, v8
	v_mul_hi_u32 v12, v7, v10
	v_mul_lo_u32 v10, v7, v10
	v_mul_hi_u32 v14, v7, v8
	v_add_co_u32_e32 v9, vcc, v9, v11
	v_addc_co_u32_e32 v11, vcc, 0, v13, vcc
	v_mul_lo_u32 v8, v7, v8
	v_add_co_u32_e32 v9, vcc, v9, v10
	v_addc_co_u32_e32 v9, vcc, v11, v12, vcc
	v_addc_co_u32_e32 v10, vcc, 0, v14, vcc
	v_add_co_u32_e32 v8, vcc, v9, v8
	v_addc_co_u32_e32 v9, vcc, 0, v10, vcc
	v_add_co_u32_e32 v4, vcc, v4, v8
	v_addc_co_u32_e32 v7, vcc, v7, v9, vcc
	v_mul_lo_u32 v8, s0, v7
	v_mul_hi_u32 v9, s0, v4
	v_mul_lo_u32 v10, s1, v4
	v_mul_lo_u32 v11, s0, v4
	v_add_u32_e32 v8, v9, v8
	v_add_u32_e32 v8, v8, v10
	v_mul_lo_u32 v12, v4, v8
	v_mul_hi_u32 v13, v4, v11
	v_mul_hi_u32 v14, v4, v8
	;; [unrolled: 1-line block ×3, first 2 shown]
	v_mul_lo_u32 v11, v7, v11
	v_mul_hi_u32 v9, v7, v8
	v_add_co_u32_e32 v12, vcc, v13, v12
	v_addc_co_u32_e32 v13, vcc, 0, v14, vcc
	v_mul_lo_u32 v8, v7, v8
	v_add_co_u32_e32 v11, vcc, v12, v11
	v_addc_co_u32_e32 v10, vcc, v13, v10, vcc
	v_addc_co_u32_e32 v9, vcc, 0, v9, vcc
	v_add_co_u32_e32 v8, vcc, v10, v8
	v_addc_co_u32_e32 v9, vcc, 0, v9, vcc
	v_add_co_u32_e32 v4, vcc, v4, v8
	v_addc_co_u32_e32 v9, vcc, v7, v9, vcc
	v_mad_u64_u32 v[7:8], s[0:1], v5, v9, 0
	v_mul_hi_u32 v10, v5, v4
	v_add_co_u32_e32 v11, vcc, v10, v7
	v_addc_co_u32_e32 v12, vcc, 0, v8, vcc
	v_mad_u64_u32 v[7:8], s[0:1], v6, v4, 0
	v_mad_u64_u32 v[9:10], s[0:1], v6, v9, 0
	v_add_co_u32_e32 v4, vcc, v11, v7
	v_addc_co_u32_e32 v4, vcc, v12, v8, vcc
	v_addc_co_u32_e32 v7, vcc, 0, v10, vcc
	v_add_co_u32_e32 v4, vcc, v4, v9
	v_addc_co_u32_e32 v9, vcc, 0, v7, vcc
	v_mul_lo_u32 v10, s19, v4
	v_mul_lo_u32 v11, s18, v9
	v_mad_u64_u32 v[7:8], s[0:1], s18, v4, 0
	v_add3_u32 v8, v8, v11, v10
	v_sub_u32_e32 v10, v6, v8
	v_mov_b32_e32 v11, s19
	v_sub_co_u32_e32 v7, vcc, v5, v7
	v_subb_co_u32_e64 v10, s[0:1], v10, v11, vcc
	v_subrev_co_u32_e64 v11, s[0:1], s18, v7
	v_subbrev_co_u32_e64 v10, s[0:1], 0, v10, s[0:1]
	v_cmp_le_u32_e64 s[0:1], s19, v10
	v_cndmask_b32_e64 v12, 0, -1, s[0:1]
	v_cmp_le_u32_e64 s[0:1], s18, v11
	v_cndmask_b32_e64 v11, 0, -1, s[0:1]
	v_cmp_eq_u32_e64 s[0:1], s19, v10
	v_cndmask_b32_e64 v10, v12, v11, s[0:1]
	v_add_co_u32_e64 v11, s[0:1], 2, v4
	v_addc_co_u32_e64 v12, s[0:1], 0, v9, s[0:1]
	v_add_co_u32_e64 v13, s[0:1], 1, v4
	v_addc_co_u32_e64 v14, s[0:1], 0, v9, s[0:1]
	v_subb_co_u32_e32 v8, vcc, v6, v8, vcc
	v_cmp_ne_u32_e64 s[0:1], 0, v10
	v_cmp_le_u32_e32 vcc, s19, v8
	v_cndmask_b32_e64 v10, v14, v12, s[0:1]
	v_cndmask_b32_e64 v12, 0, -1, vcc
	v_cmp_le_u32_e32 vcc, s18, v7
	v_cndmask_b32_e64 v7, 0, -1, vcc
	v_cmp_eq_u32_e32 vcc, s19, v8
	v_cndmask_b32_e32 v7, v12, v7, vcc
	v_cmp_ne_u32_e32 vcc, 0, v7
	v_cndmask_b32_e64 v7, v13, v11, s[0:1]
	v_cndmask_b32_e32 v8, v9, v10, vcc
	v_cndmask_b32_e32 v7, v4, v7, vcc
.LBB0_4:                                ;   in Loop: Header=BB0_2 Depth=1
	s_andn2_saveexec_b64 s[0:1], s[20:21]
	s_cbranch_execz .LBB0_6
; %bb.5:                                ;   in Loop: Header=BB0_2 Depth=1
	v_cvt_f32_u32_e32 v4, s18
	s_sub_i32 s20, 0, s18
	v_rcp_iflag_f32_e32 v4, v4
	v_mul_f32_e32 v4, 0x4f7ffffe, v4
	v_cvt_u32_f32_e32 v4, v4
	v_mul_lo_u32 v7, s20, v4
	v_mul_hi_u32 v7, v4, v7
	v_add_u32_e32 v4, v4, v7
	v_mul_hi_u32 v4, v5, v4
	v_mul_lo_u32 v7, v4, s18
	v_add_u32_e32 v8, 1, v4
	v_sub_u32_e32 v7, v5, v7
	v_subrev_u32_e32 v9, s18, v7
	v_cmp_le_u32_e32 vcc, s18, v7
	v_cndmask_b32_e32 v7, v7, v9, vcc
	v_cndmask_b32_e32 v4, v4, v8, vcc
	v_add_u32_e32 v8, 1, v4
	v_cmp_le_u32_e32 vcc, s18, v7
	v_cndmask_b32_e32 v7, v4, v8, vcc
	v_mov_b32_e32 v8, v3
.LBB0_6:                                ;   in Loop: Header=BB0_2 Depth=1
	s_or_b64 exec, exec, s[0:1]
	v_mul_lo_u32 v4, v8, s18
	v_mul_lo_u32 v11, v7, s19
	v_mad_u64_u32 v[9:10], s[0:1], v7, s18, 0
	s_load_dwordx2 s[0:1], s[6:7], 0x0
	s_add_u32 s16, s16, 1
	v_add3_u32 v4, v10, v11, v4
	v_sub_co_u32_e32 v5, vcc, v5, v9
	v_subb_co_u32_e32 v4, vcc, v6, v4, vcc
	s_waitcnt lgkmcnt(0)
	v_mul_lo_u32 v4, s0, v4
	v_mul_lo_u32 v6, s1, v5
	v_mad_u64_u32 v[1:2], s[0:1], s0, v5, v[1:2]
	s_addc_u32 s17, s17, 0
	s_add_u32 s6, s6, 8
	v_add3_u32 v2, v6, v2, v4
	v_mov_b32_e32 v4, s10
	v_mov_b32_e32 v5, s11
	s_addc_u32 s7, s7, 0
	v_cmp_ge_u64_e32 vcc, s[16:17], v[4:5]
	s_add_u32 s14, s14, 8
	s_addc_u32 s15, s15, 0
	s_cbranch_vccnz .LBB0_9
; %bb.7:                                ;   in Loop: Header=BB0_2 Depth=1
	v_mov_b32_e32 v5, v7
	v_mov_b32_e32 v6, v8
	s_branch .LBB0_2
.LBB0_8:
	v_mov_b32_e32 v8, v6
	v_mov_b32_e32 v7, v5
.LBB0_9:
	s_lshl_b64 s[0:1], s[10:11], 3
	s_add_u32 s0, s12, s0
	s_addc_u32 s1, s13, s1
	s_load_dwordx2 s[6:7], s[0:1], 0x0
	s_load_dwordx2 s[10:11], s[4:5], 0x20
                                        ; implicit-def: $vgpr14_vgpr15
                                        ; implicit-def: $vgpr38_vgpr39
                                        ; implicit-def: $vgpr10_vgpr11
                                        ; implicit-def: $vgpr30_vgpr31
                                        ; implicit-def: $vgpr18_vgpr19
                                        ; implicit-def: $vgpr34_vgpr35
                                        ; implicit-def: $vgpr26_vgpr27
                                        ; implicit-def: $vgpr22_vgpr23
	s_waitcnt lgkmcnt(0)
	v_mad_u64_u32 v[1:2], s[0:1], s6, v7, v[1:2]
	v_mul_lo_u32 v3, s6, v8
	v_mul_lo_u32 v4, s7, v7
	s_mov_b32 s0, 0x3030304
	v_mul_hi_u32 v5, v0, s0
	v_cmp_gt_u64_e32 vcc, s[10:11], v[7:8]
	v_add3_u32 v2, v4, v2, v3
	v_lshlrev_b64 v[94:95], 4, v[1:2]
	v_mul_u32_u24_e32 v3, 0x55, v5
	v_sub_u32_e32 v92, v0, v3
                                        ; implicit-def: $vgpr2_vgpr3
                                        ; implicit-def: $vgpr6_vgpr7
	s_and_saveexec_b64 s[4:5], vcc
	s_cbranch_execz .LBB0_11
; %bb.10:
	v_mov_b32_e32 v93, 0
	v_mov_b32_e32 v0, s3
	v_add_co_u32_e64 v2, s[0:1], s2, v94
	v_addc_co_u32_e64 v3, s[0:1], v0, v95, s[0:1]
	v_lshlrev_b64 v[0:1], 4, v[92:93]
	v_add_co_u32_e64 v8, s[0:1], v2, v0
	v_addc_co_u32_e64 v9, s[0:1], v3, v1, s[0:1]
	s_movk_i32 s0, 0x1000
	v_add_co_u32_e64 v40, s[0:1], s0, v8
	v_addc_co_u32_e64 v41, s[0:1], 0, v9, s[0:1]
	s_movk_i32 s0, 0x2000
	v_add_co_u32_e64 v42, s[0:1], s0, v8
	global_load_dwordx4 v[20:23], v[8:9], off
	global_load_dwordx4 v[4:7], v[8:9], off offset:1360
	global_load_dwordx4 v[24:27], v[8:9], off offset:2720
	;; [unrolled: 1-line block ×3, first 2 shown]
	v_addc_co_u32_e64 v43, s[0:1], 0, v9, s[0:1]
	global_load_dwordx4 v[32:35], v[40:41], off offset:1344
	global_load_dwordx4 v[16:19], v[40:41], off offset:2704
	;; [unrolled: 1-line block ×6, first 2 shown]
.LBB0_11:
	s_or_b64 exec, exec, s[4:5]
	s_waitcnt vmcnt(3)
	v_add_f64 v[42:43], v[28:29], v[32:33]
	v_add_f64 v[40:41], v[24:25], v[20:21]
	s_waitcnt vmcnt(1)
	v_add_f64 v[44:45], v[26:27], -v[38:39]
	v_add_f64 v[48:49], v[24:25], -v[32:33]
	v_add_f64 v[50:51], v[36:37], v[24:25]
	v_add_f64 v[52:53], v[36:37], -v[28:29]
	s_mov_b32 s12, 0x134454ff
	s_mov_b32 s13, 0x3fee6f0e
	v_fma_f64 v[42:43], v[42:43], -0.5, v[20:21]
	s_mov_b32 s11, 0xbfee6f0e
	s_mov_b32 s10, s12
	v_add_f64 v[46:47], v[34:35], -v[30:31]
	v_add_f64 v[40:41], v[32:33], v[40:41]
	v_fma_f64 v[20:21], v[50:51], -0.5, v[20:21]
	v_add_f64 v[48:49], v[52:53], v[48:49]
	v_add_f64 v[52:53], v[26:27], v[22:23]
	v_fma_f64 v[54:55], v[44:45], s[12:13], v[42:43]
	v_fma_f64 v[42:43], v[44:45], s[10:11], v[42:43]
	s_mov_b32 s0, 0x4755a5e
	s_mov_b32 s1, 0x3fe2cf23
	;; [unrolled: 1-line block ×4, first 2 shown]
	v_add_f64 v[40:41], v[28:29], v[40:41]
	v_fma_f64 v[56:57], v[46:47], s[10:11], v[20:21]
	v_fma_f64 v[50:51], v[46:47], s[0:1], v[54:55]
	v_add_f64 v[54:55], v[30:31], v[34:35]
	v_add_f64 v[58:59], v[32:33], -v[24:25]
	v_add_f64 v[60:61], v[28:29], -v[36:37]
	v_fma_f64 v[42:43], v[46:47], s[6:7], v[42:43]
	v_fma_f64 v[20:21], v[46:47], s[12:13], v[20:21]
	v_add_f64 v[46:47], v[34:35], v[52:53]
	v_add_f64 v[40:41], v[36:37], v[40:41]
	v_add_f64 v[24:25], v[24:25], -v[36:37]
	v_fma_f64 v[52:53], v[54:55], -0.5, v[22:23]
	v_fma_f64 v[36:37], v[44:45], s[0:1], v[56:57]
	v_add_f64 v[54:55], v[60:61], v[58:59]
	s_mov_b32 s4, 0x372fe950
	v_fma_f64 v[20:21], v[44:45], s[6:7], v[20:21]
	v_add_f64 v[44:45], v[30:31], v[46:47]
	v_add_f64 v[46:47], v[38:39], v[26:27]
	s_mov_b32 s5, 0x3fd3c6ef
	v_fma_f64 v[50:51], v[48:49], s[4:5], v[50:51]
	v_fma_f64 v[42:43], v[48:49], s[4:5], v[42:43]
	;; [unrolled: 1-line block ×3, first 2 shown]
	v_add_f64 v[28:29], v[32:33], -v[28:29]
	v_fma_f64 v[32:33], v[54:55], s[4:5], v[36:37]
	v_add_f64 v[36:37], v[8:9], v[16:17]
	v_add_f64 v[56:57], v[26:27], -v[34:35]
	v_add_f64 v[58:59], v[38:39], -v[30:31]
	v_fma_f64 v[54:55], v[54:55], s[4:5], v[20:21]
	v_fma_f64 v[20:21], v[46:47], -0.5, v[22:23]
	v_add_f64 v[22:23], v[38:39], v[44:45]
	v_fma_f64 v[44:45], v[28:29], s[6:7], v[48:49]
	v_add_f64 v[46:47], v[0:1], v[4:5]
	v_fma_f64 v[36:37], v[36:37], -0.5, v[4:5]
	s_waitcnt vmcnt(0)
	v_add_f64 v[48:49], v[2:3], -v[14:15]
	v_add_f64 v[56:57], v[58:59], v[56:57]
	v_fma_f64 v[52:53], v[24:25], s[12:13], v[52:53]
	v_fma_f64 v[58:59], v[28:29], s[12:13], v[20:21]
	v_add_f64 v[26:27], v[34:35], -v[26:27]
	v_add_f64 v[30:31], v[30:31], -v[38:39]
	v_fma_f64 v[20:21], v[28:29], s[10:11], v[20:21]
	v_add_f64 v[34:35], v[16:17], v[46:47]
	v_fma_f64 v[38:39], v[48:49], s[12:13], v[36:37]
	v_add_f64 v[46:47], v[18:19], -v[10:11]
	v_add_f64 v[60:61], v[0:1], -v[16:17]
	;; [unrolled: 1-line block ×3, first 2 shown]
	v_fma_f64 v[28:29], v[28:29], s[0:1], v[52:53]
	v_fma_f64 v[52:53], v[24:25], s[6:7], v[58:59]
	v_add_f64 v[58:59], v[12:13], v[0:1]
	v_add_f64 v[26:27], v[30:31], v[26:27]
	v_fma_f64 v[20:21], v[24:25], s[0:1], v[20:21]
	v_add_f64 v[24:25], v[8:9], v[34:35]
	v_fma_f64 v[30:31], v[46:47], s[0:1], v[38:39]
	;; [unrolled: 2-line block ×3, first 2 shown]
	v_fma_f64 v[38:39], v[56:57], s[4:5], v[44:45]
	v_fma_f64 v[4:5], v[58:59], -0.5, v[4:5]
	v_fma_f64 v[44:45], v[56:57], s[4:5], v[28:29]
	v_fma_f64 v[52:53], v[26:27], s[4:5], v[52:53]
	;; [unrolled: 1-line block ×3, first 2 shown]
	v_add_f64 v[26:27], v[10:11], v[18:19]
	v_add_f64 v[20:21], v[12:13], v[24:25]
	v_fma_f64 v[24:25], v[34:35], s[4:5], v[30:31]
	v_fma_f64 v[28:29], v[46:47], s[6:7], v[36:37]
	;; [unrolled: 1-line block ×3, first 2 shown]
	v_add_f64 v[58:59], v[2:3], v[6:7]
	v_add_f64 v[62:63], v[14:15], v[2:3]
	v_add_f64 v[36:37], v[16:17], -v[0:1]
	v_add_f64 v[60:61], v[8:9], -v[12:13]
	v_fma_f64 v[26:27], v[26:27], -0.5, v[6:7]
	v_add_f64 v[0:1], v[0:1], -v[12:13]
	v_fma_f64 v[4:5], v[46:47], s[12:13], v[4:5]
	v_fma_f64 v[12:13], v[34:35], s[4:5], v[28:29]
	;; [unrolled: 1-line block ×3, first 2 shown]
	v_add_f64 v[30:31], v[18:19], v[58:59]
	v_add_f64 v[8:9], v[16:17], -v[8:9]
	v_fma_f64 v[6:7], v[62:63], -0.5, v[6:7]
	v_add_f64 v[16:17], v[60:61], v[36:37]
	v_fma_f64 v[34:35], v[0:1], s[10:11], v[26:27]
	v_add_f64 v[36:37], v[2:3], -v[18:19]
	v_add_f64 v[46:47], v[14:15], -v[10:11]
	v_fma_f64 v[4:5], v[48:49], s[6:7], v[4:5]
	v_add_f64 v[30:31], v[10:11], v[30:31]
	v_fma_f64 v[26:27], v[0:1], s[12:13], v[26:27]
	v_fma_f64 v[48:49], v[8:9], s[12:13], v[6:7]
	v_add_f64 v[2:3], v[18:19], -v[2:3]
	v_add_f64 v[10:11], v[10:11], -v[14:15]
	v_fma_f64 v[6:7], v[8:9], s[10:11], v[6:7]
	v_fma_f64 v[18:19], v[8:9], s[6:7], v[34:35]
	v_add_f64 v[34:35], v[46:47], v[36:37]
	v_fma_f64 v[28:29], v[16:17], s[4:5], v[28:29]
	v_fma_f64 v[16:17], v[16:17], s[4:5], v[4:5]
	v_fma_f64 v[4:5], v[8:9], s[0:1], v[26:27]
	v_fma_f64 v[8:9], v[0:1], s[6:7], v[48:49]
	v_add_f64 v[2:3], v[10:11], v[2:3]
	v_fma_f64 v[0:1], v[0:1], s[0:1], v[6:7]
	s_mov_b32 s14, 0x9b97f4a8
	s_mov_b32 s15, 0x3fe9e377
	v_fma_f64 v[6:7], v[34:35], s[4:5], v[18:19]
	v_mul_f64 v[10:11], v[24:25], s[14:15]
	v_fma_f64 v[4:5], v[34:35], s[4:5], v[4:5]
	v_add_f64 v[26:27], v[14:15], v[30:31]
	v_fma_f64 v[8:9], v[2:3], s[4:5], v[8:9]
	v_fma_f64 v[2:3], v[2:3], s[4:5], v[0:1]
	v_mul_f64 v[14:15], v[28:29], s[4:5]
	v_mul_f64 v[18:19], v[16:17], s[4:5]
	;; [unrolled: 1-line block ×3, first 2 shown]
	v_fma_f64 v[34:35], v[6:7], s[0:1], v[10:11]
	v_mul_f64 v[10:11], v[24:25], s[6:7]
	v_mul_f64 v[24:25], v[28:29], s[10:11]
	v_mul_f64 v[36:37], v[4:5], s[14:15]
	v_mul_f64 v[28:29], v[2:3], s[4:5]
	v_fma_f64 v[46:47], v[8:9], s[12:13], v[14:15]
	v_fma_f64 v[48:49], v[2:3], s[12:13], -v[18:19]
	v_fma_f64 v[30:31], v[4:5], s[0:1], -v[30:31]
	v_add_f64 v[0:1], v[20:21], v[40:41]
	v_fma_f64 v[58:59], v[6:7], s[14:15], v[10:11]
	v_fma_f64 v[60:61], v[8:9], s[4:5], v[24:25]
	v_fma_f64 v[64:65], v[12:13], s[6:7], -v[36:37]
	v_fma_f64 v[62:63], v[16:17], s[10:11], -v[28:29]
	v_add_f64 v[2:3], v[26:27], v[22:23]
	v_add_f64 v[4:5], v[50:51], v[34:35]
	;; [unrolled: 1-line block ×9, first 2 shown]
	v_add_f64 v[20:21], v[40:41], -v[20:21]
	v_add_f64 v[22:23], v[22:23], -v[26:27]
	;; [unrolled: 1-line block ×4, first 2 shown]
	v_mul_u32_u24_e32 v40, 10, v92
	v_add_f64 v[28:29], v[32:33], -v[46:47]
	v_add_f64 v[36:37], v[42:43], -v[30:31]
	;; [unrolled: 1-line block ×4, first 2 shown]
	v_lshl_add_u32 v44, v40, 4, 0
	s_movk_i32 s14, 0xcd
	v_add_f64 v[32:33], v[54:55], -v[48:49]
	v_add_f64 v[34:35], v[56:57], -v[62:63]
	ds_write_b128 v44, v[0:3]
	ds_write_b128 v44, v[4:7] offset:16
	ds_write_b128 v44, v[8:11] offset:32
	;; [unrolled: 1-line block ×9, first 2 shown]
	v_mul_lo_u16_sdwa v0, v92, s14 dst_sel:DWORD dst_unused:UNUSED_PAD src0_sel:BYTE_0 src1_sel:DWORD
	v_lshrrev_b16_e32 v40, 11, v0
	v_mul_lo_u16_e32 v0, 10, v40
	v_sub_u16_e32 v41, v92, v0
	v_mov_b32_e32 v16, 6
	v_lshlrev_b32_sdwa v17, v16, v41 dst_sel:DWORD dst_unused:UNUSED_PAD src0_sel:DWORD src1_sel:BYTE_0
	s_waitcnt lgkmcnt(0)
	s_barrier
	global_load_dwordx4 v[0:3], v17, s[8:9]
	global_load_dwordx4 v[4:7], v17, s[8:9] offset:16
	global_load_dwordx4 v[8:11], v17, s[8:9] offset:32
	;; [unrolled: 1-line block ×3, first 2 shown]
	v_add_u16_e32 v17, 0x55, v92
	v_mul_lo_u16_sdwa v18, v17, s14 dst_sel:DWORD dst_unused:UNUSED_PAD src0_sel:BYTE_0 src1_sel:DWORD
	v_lshrrev_b16_e32 v42, 11, v18
	v_mul_lo_u16_e32 v18, 10, v42
	v_sub_u16_e32 v43, v17, v18
	v_lshlrev_b32_sdwa v32, v16, v43 dst_sel:DWORD dst_unused:UNUSED_PAD src0_sel:DWORD src1_sel:BYTE_0
	global_load_dwordx4 v[16:19], v32, s[8:9]
	global_load_dwordx4 v[20:23], v32, s[8:9] offset:16
	global_load_dwordx4 v[24:27], v32, s[8:9] offset:32
	;; [unrolled: 1-line block ×3, first 2 shown]
	s_movk_i32 s14, 0xff70
	v_mad_i32_i24 v64, v92, s14, v44
	ds_read_b128 v[32:35], v64 offset:2720
	ds_read_b128 v[36:39], v64
	ds_read_b128 v[44:47], v64 offset:1360
	ds_read_b128 v[48:51], v64 offset:4080
	;; [unrolled: 1-line block ×8, first 2 shown]
	v_mul_u32_u24_e32 v40, 0x320, v40
	s_waitcnt vmcnt(0) lgkmcnt(0)
	s_barrier
	v_mul_f64 v[77:78], v[34:35], v[2:3]
	v_mul_f64 v[2:3], v[32:33], v[2:3]
	v_mul_f64 v[79:80], v[54:55], v[6:7]
	v_mul_f64 v[6:7], v[52:53], v[6:7]
	v_mul_f64 v[81:82], v[62:63], v[10:11]
	v_mul_f64 v[10:11], v[60:61], v[10:11]
	v_fma_f64 v[32:33], v[32:33], v[0:1], -v[77:78]
	v_fma_f64 v[34:35], v[34:35], v[0:1], v[2:3]
	v_fma_f64 v[2:3], v[52:53], v[4:5], -v[79:80]
	v_mul_f64 v[0:1], v[71:72], v[14:15]
	v_fma_f64 v[6:7], v[54:55], v[4:5], v[6:7]
	v_mul_f64 v[4:5], v[69:70], v[14:15]
	v_fma_f64 v[14:15], v[60:61], v[8:9], -v[81:82]
	v_mul_f64 v[52:53], v[50:51], v[18:19]
	v_fma_f64 v[10:11], v[62:63], v[8:9], v[10:11]
	v_mul_f64 v[8:9], v[48:49], v[18:19]
	v_mul_f64 v[18:19], v[58:59], v[22:23]
	v_fma_f64 v[54:55], v[69:70], v[12:13], -v[0:1]
	v_add_f64 v[0:1], v[36:37], v[32:33]
	v_fma_f64 v[60:61], v[71:72], v[12:13], v[4:5]
	v_add_f64 v[4:5], v[2:3], v[14:15]
	v_mul_f64 v[12:13], v[56:57], v[22:23]
	v_fma_f64 v[48:49], v[48:49], v[16:17], -v[52:53]
	v_fma_f64 v[22:23], v[50:51], v[16:17], v[8:9]
	v_fma_f64 v[50:51], v[56:57], v[20:21], -v[18:19]
	v_mul_f64 v[8:9], v[67:68], v[26:27]
	v_mul_f64 v[16:17], v[65:66], v[26:27]
	v_add_f64 v[18:19], v[34:35], -v[60:61]
	v_fma_f64 v[4:5], v[4:5], -0.5, v[36:37]
	v_fma_f64 v[26:27], v[58:59], v[20:21], v[12:13]
	v_mul_f64 v[12:13], v[75:76], v[30:31]
	v_mul_f64 v[20:21], v[73:74], v[30:31]
	v_add_f64 v[30:31], v[32:33], v[54:55]
	v_fma_f64 v[52:53], v[65:66], v[24:25], -v[8:9]
	v_fma_f64 v[56:57], v[67:68], v[24:25], v[16:17]
	v_add_f64 v[16:17], v[6:7], -v[10:11]
	v_fma_f64 v[8:9], v[18:19], s[12:13], v[4:5]
	v_add_f64 v[24:25], v[54:55], -v[14:15]
	v_fma_f64 v[58:59], v[73:74], v[28:29], -v[12:13]
	v_fma_f64 v[62:63], v[75:76], v[28:29], v[20:21]
	v_fma_f64 v[12:13], v[30:31], -0.5, v[36:37]
	v_add_f64 v[20:21], v[32:33], -v[2:3]
	v_fma_f64 v[4:5], v[18:19], s[10:11], v[4:5]
	v_add_f64 v[0:1], v[0:1], v[2:3]
	v_fma_f64 v[8:9], v[16:17], s[0:1], v[8:9]
	v_add_f64 v[28:29], v[38:39], v[34:35]
	v_add_f64 v[30:31], v[6:7], v[10:11]
	v_add_f64 v[65:66], v[2:3], -v[32:33]
	v_fma_f64 v[36:37], v[16:17], s[10:11], v[12:13]
	v_add_f64 v[67:68], v[14:15], -v[54:55]
	v_add_f64 v[20:21], v[20:21], v[24:25]
	v_fma_f64 v[24:25], v[16:17], s[6:7], v[4:5]
	v_fma_f64 v[12:13], v[16:17], s[12:13], v[12:13]
	v_add_f64 v[0:1], v[0:1], v[14:15]
	v_add_f64 v[16:17], v[28:29], v[6:7]
	v_fma_f64 v[28:29], v[30:31], -0.5, v[38:39]
	v_add_f64 v[30:31], v[32:33], -v[54:55]
	v_fma_f64 v[32:33], v[18:19], s[0:1], v[36:37]
	v_add_f64 v[36:37], v[65:66], v[67:68]
	v_fma_f64 v[4:5], v[20:21], s[4:5], v[8:9]
	v_fma_f64 v[8:9], v[20:21], s[4:5], v[24:25]
	;; [unrolled: 1-line block ×3, first 2 shown]
	v_add_f64 v[24:25], v[34:35], v[60:61]
	v_add_f64 v[0:1], v[0:1], v[54:55]
	;; [unrolled: 1-line block ×3, first 2 shown]
	v_fma_f64 v[54:55], v[30:31], s[10:11], v[28:29]
	v_add_f64 v[14:15], v[2:3], -v[14:15]
	v_fma_f64 v[12:13], v[36:37], s[4:5], v[32:33]
	v_add_f64 v[32:33], v[50:51], v[52:53]
	v_fma_f64 v[16:17], v[36:37], s[4:5], v[18:19]
	v_fma_f64 v[18:19], v[24:25], -0.5, v[38:39]
	v_add_f64 v[65:66], v[34:35], -v[6:7]
	v_add_f64 v[67:68], v[60:61], -v[10:11]
	v_add_f64 v[2:3], v[20:21], v[60:61]
	v_fma_f64 v[20:21], v[14:15], s[6:7], v[54:55]
	v_add_f64 v[36:37], v[22:23], -v[62:63]
	v_fma_f64 v[32:33], v[32:33], -0.5, v[44:45]
	v_fma_f64 v[28:29], v[30:31], s[12:13], v[28:29]
	v_fma_f64 v[54:55], v[14:15], s[12:13], v[18:19]
	v_add_f64 v[6:7], v[6:7], -v[34:35]
	v_add_f64 v[10:11], v[10:11], -v[60:61]
	v_add_f64 v[24:25], v[44:45], v[48:49]
	v_add_f64 v[38:39], v[65:66], v[67:68]
	v_fma_f64 v[18:19], v[14:15], s[10:11], v[18:19]
	v_fma_f64 v[34:35], v[36:37], s[12:13], v[32:33]
	v_add_f64 v[60:61], v[26:27], -v[56:57]
	v_add_f64 v[65:66], v[48:49], -v[50:51]
	;; [unrolled: 1-line block ×3, first 2 shown]
	v_fma_f64 v[14:15], v[14:15], s[0:1], v[28:29]
	v_fma_f64 v[54:55], v[30:31], s[6:7], v[54:55]
	v_add_f64 v[69:70], v[6:7], v[10:11]
	v_add_f64 v[24:25], v[24:25], v[50:51]
	v_add_f64 v[28:29], v[48:49], v[58:59]
	v_fma_f64 v[18:19], v[30:31], s[0:1], v[18:19]
	v_fma_f64 v[30:31], v[60:61], s[0:1], v[34:35]
	v_add_f64 v[34:35], v[65:66], v[67:68]
	v_fma_f64 v[6:7], v[38:39], s[4:5], v[20:21]
	v_fma_f64 v[10:11], v[38:39], s[4:5], v[14:15]
	;; [unrolled: 1-line block ×3, first 2 shown]
	v_add_f64 v[38:39], v[26:27], v[56:57]
	v_add_f64 v[54:55], v[22:23], v[62:63]
	;; [unrolled: 1-line block ×3, first 2 shown]
	v_fma_f64 v[28:29], v[28:29], -0.5, v[44:45]
	v_fma_f64 v[20:21], v[34:35], s[4:5], v[30:31]
	v_fma_f64 v[30:31], v[36:37], s[10:11], v[32:33]
	v_add_f64 v[44:45], v[50:51], -v[48:49]
	v_add_f64 v[65:66], v[52:53], -v[58:59]
	v_add_f64 v[67:68], v[46:47], v[22:23]
	v_fma_f64 v[38:39], v[38:39], -0.5, v[46:47]
	v_add_f64 v[48:49], v[48:49], -v[58:59]
	v_add_f64 v[50:51], v[50:51], -v[52:53]
	v_fma_f64 v[46:47], v[54:55], -0.5, v[46:47]
	v_add_f64 v[24:25], v[24:25], v[58:59]
	v_fma_f64 v[32:33], v[60:61], s[10:11], v[28:29]
	v_fma_f64 v[30:31], v[60:61], s[6:7], v[30:31]
	v_add_f64 v[44:45], v[44:45], v[65:66]
	v_fma_f64 v[28:29], v[60:61], s[12:13], v[28:29]
	v_add_f64 v[52:53], v[67:68], v[26:27]
	v_fma_f64 v[54:55], v[48:49], s[10:11], v[38:39]
	v_add_f64 v[58:59], v[22:23], -v[26:27]
	v_add_f64 v[60:61], v[62:63], -v[56:57]
	v_fma_f64 v[38:39], v[48:49], s[12:13], v[38:39]
	v_fma_f64 v[65:66], v[50:51], s[12:13], v[46:47]
	v_add_f64 v[22:23], v[26:27], -v[22:23]
	v_add_f64 v[26:27], v[56:57], -v[62:63]
	v_fma_f64 v[46:47], v[50:51], s[10:11], v[46:47]
	v_fma_f64 v[32:33], v[36:37], s[0:1], v[32:33]
	;; [unrolled: 1-line block ×3, first 2 shown]
	v_add_f64 v[52:53], v[52:53], v[56:57]
	v_fma_f64 v[54:55], v[50:51], s[6:7], v[54:55]
	v_add_f64 v[56:57], v[58:59], v[60:61]
	v_fma_f64 v[38:39], v[50:51], s[0:1], v[38:39]
	v_fma_f64 v[50:51], v[48:49], s[6:7], v[65:66]
	v_add_f64 v[58:59], v[22:23], v[26:27]
	v_fma_f64 v[46:47], v[48:49], s[0:1], v[46:47]
	v_fma_f64 v[18:19], v[69:70], s[4:5], v[18:19]
	;; [unrolled: 1-line block ×5, first 2 shown]
	v_add_f64 v[26:27], v[52:53], v[62:63]
	v_fma_f64 v[22:23], v[56:57], s[4:5], v[54:55]
	v_fma_f64 v[30:31], v[56:57], s[4:5], v[38:39]
	;; [unrolled: 1-line block ×4, first 2 shown]
	v_mov_b32_e32 v44, 4
	v_lshlrev_b32_sdwa v41, v44, v41 dst_sel:DWORD dst_unused:UNUSED_PAD src0_sel:DWORD src1_sel:BYTE_0
	v_add3_u32 v40, 0, v40, v41
	ds_write_b128 v40, v[0:3]
	ds_write_b128 v40, v[4:7] offset:160
	ds_write_b128 v40, v[12:15] offset:320
	;; [unrolled: 1-line block ×4, first 2 shown]
	v_mul_u32_u24_e32 v40, 0x320, v42
	v_lshlrev_b32_sdwa v41, v44, v43 dst_sel:DWORD dst_unused:UNUSED_PAD src0_sel:DWORD src1_sel:BYTE_0
	v_add3_u32 v40, 0, v40, v41
	v_cmp_gt_u32_e64 s[0:1], 50, v92
	ds_write_b128 v40, v[24:27]
	ds_write_b128 v40, v[20:23] offset:160
	ds_write_b128 v40, v[32:35] offset:320
	;; [unrolled: 1-line block ×4, first 2 shown]
	s_waitcnt lgkmcnt(0)
	s_barrier
	s_waitcnt lgkmcnt(0)
                                        ; implicit-def: $vgpr66_vgpr67
                                        ; implicit-def: $vgpr62_vgpr63
                                        ; implicit-def: $vgpr54_vgpr55
                                        ; implicit-def: $vgpr50_vgpr51
                                        ; implicit-def: $vgpr58_vgpr59
                                        ; implicit-def: $vgpr46_vgpr47
                                        ; implicit-def: $vgpr42_vgpr43
	s_and_saveexec_b64 s[4:5], s[0:1]
	s_cbranch_execnz .LBB0_14
; %bb.12:
	s_or_b64 exec, exec, s[4:5]
	s_and_b64 s[0:1], vcc, s[0:1]
	s_and_saveexec_b64 s[4:5], s[0:1]
	s_cbranch_execnz .LBB0_15
.LBB0_13:
	s_endpgm
.LBB0_14:
	ds_read_b128 v[0:3], v64
	ds_read_b128 v[4:7], v64 offset:800
	ds_read_b128 v[12:15], v64 offset:1600
	;; [unrolled: 1-line block ×16, first 2 shown]
	s_or_b64 exec, exec, s[4:5]
	s_and_b64 s[0:1], vcc, s[0:1]
	s_and_saveexec_b64 s[4:5], s[0:1]
	s_cbranch_execz .LBB0_13
.LBB0_15:
	v_lshlrev_b32_e32 v96, 4, v92
	v_mov_b32_e32 v97, 0
	v_lshlrev_b64 v[68:69], 4, v[96:97]
	v_mov_b32_e32 v70, s9
	v_add_co_u32_e32 v98, vcc, s8, v68
	v_addc_co_u32_e32 v99, vcc, v70, v69, vcc
	global_load_dwordx4 v[72:75], v[98:99], off offset:752
	global_load_dwordx4 v[68:71], v[98:99], off offset:768
	;; [unrolled: 1-line block ×16, first 2 shown]
	s_mov_b32 s0, 0x7faef3
	s_mov_b32 s1, 0xbfef7484
	s_mov_b32 s6, 0x370991
	s_mov_b32 s4, 0xacd6c6b4
	s_mov_b32 s7, 0x3fedd6d0
	s_mov_b32 s5, 0x3fc7851a
	s_mov_b32 s20, 0x5d8e7cdc
	s_mov_b32 s12, 0x910ea3b9
	s_mov_b32 s21, 0xbfd71e95
	s_mov_b32 s9, 0xbfc7851a
	s_mov_b32 s13, 0xbfeb34fa
	s_mov_b32 s8, s4
	s_mov_b32 s18, 0x4363dd80
	s_mov_b32 s22, 0x75d4884
	s_mov_b32 s11, 0x3fd71e95
	s_mov_b32 s19, 0x3fe0d888
	s_mov_b32 s23, 0x3fe7a5f6
	s_mov_b32 s10, s20
	s_mov_b32 s24, 0x2a9d6da3
	s_mov_b32 s16, 0x6ed5f1bb
	s_mov_b32 s15, 0xbfe0d888
	s_mov_b32 s25, 0xbfe58eea
	s_mov_b32 s17, 0xbfe348c8
	s_mov_b32 s14, s18
	s_mov_b32 s26, 0x6c9a05f6
	s_mov_b32 s27, 0x3fe9895b
	s_mov_b32 s31, 0x3fe58eea
	s_mov_b32 s30, s24
	s_mov_b32 s36, 0x2b2883cd
	s_mov_b32 s37, 0x3fdc86fa
	s_mov_b32 s29, 0xbfe9895b
	s_mov_b32 s28, s26
	s_mov_b32 s38, 0x7c9e640b
	s_mov_b32 s34, 0xc61f0d01
	s_mov_b32 s39, 0xbfeca52d
	s_mov_b32 s35, 0xbfd183b1
	s_mov_b32 s49, 0x3feca52d
	s_mov_b32 s48, s38
	s_mov_b32 s42, 0x923c349f
	s_mov_b32 s43, 0x3feec746
	s_mov_b32 s41, 0xbfeec746
	s_mov_b32 s40, s42
	s_mov_b32 s44, 0x3259b75e
	s_mov_b32 s45, 0x3fb79ee6
	s_mov_b32 s46, 0xeb564b22
	s_mov_b32 s47, 0xbfefdd0d
	s_mov_b32 s51, 0x3fefdd0d
	s_mov_b32 s50, s46
	v_mov_b32_e32 v93, v97
	s_waitcnt vmcnt(15) lgkmcnt(8)
	v_mul_f64 v[98:99], v[38:39], v[72:73]
	v_mul_f64 v[38:39], v[38:39], v[74:75]
	s_waitcnt vmcnt(14) lgkmcnt(7)
	v_mul_f64 v[108:109], v[30:31], v[68:69]
	v_mul_f64 v[30:31], v[30:31], v[70:71]
	s_waitcnt vmcnt(13)
	v_mul_f64 v[150:151], v[34:35], v[76:77]
	v_mul_f64 v[34:35], v[34:35], v[78:79]
	s_waitcnt vmcnt(9)
	v_mul_f64 v[110:111], v[26:27], v[100:101]
	s_waitcnt vmcnt(8) lgkmcnt(4)
	v_mul_f64 v[118:119], v[58:59], v[104:105]
	v_mul_f64 v[58:59], v[58:59], v[106:107]
	s_waitcnt vmcnt(6) lgkmcnt(3)
	v_mul_f64 v[154:155], v[50:51], v[120:121]
	s_waitcnt vmcnt(5)
	v_mul_f64 v[156:157], v[6:7], v[124:125]
	v_mul_f64 v[158:159], v[50:51], v[122:123]
	s_waitcnt vmcnt(3) lgkmcnt(0)
	v_mul_f64 v[50:51], v[66:67], v[132:133]
	v_mul_f64 v[148:149], v[10:11], v[114:115]
	;; [unrolled: 1-line block ×4, first 2 shown]
	s_waitcnt vmcnt(1)
	v_mul_f64 v[174:175], v[14:15], v[140:141]
	s_waitcnt vmcnt(0)
	v_mul_f64 v[176:177], v[62:63], v[144:145]
	v_fma_f64 v[168:169], v[4:5], v[126:127], v[156:157]
	v_mul_f64 v[10:11], v[10:11], v[116:117]
	v_fma_f64 v[50:51], v[64:65], v[134:135], v[50:51]
	v_mul_f64 v[164:165], v[18:19], v[128:129]
	v_mul_f64 v[170:171], v[54:55], v[136:137]
	;; [unrolled: 1-line block ×5, first 2 shown]
	v_fma_f64 v[74:75], v[36:37], v[74:75], v[98:99]
	v_fma_f64 v[98:99], v[36:37], v[72:73], -v[38:39]
	v_fma_f64 v[72:73], v[28:29], v[70:71], v[108:109]
	v_fma_f64 v[66:67], v[56:57], v[106:107], v[118:119]
	v_fma_f64 v[70:71], v[56:57], v[104:105], -v[58:59]
	v_fma_f64 v[116:117], v[8:9], v[116:117], v[148:149]
	v_fma_f64 v[172:173], v[4:5], v[124:125], -v[6:7]
	v_fma_f64 v[54:55], v[64:65], v[132:133], -v[166:167]
	v_fma_f64 v[148:149], v[12:13], v[142:143], v[174:175]
	v_fma_f64 v[56:57], v[60:61], v[146:147], v[176:177]
	v_add_f64 v[178:179], v[168:169], v[50:51]
	v_mul_f64 v[18:19], v[18:19], v[130:131]
	v_fma_f64 v[64:65], v[48:49], v[122:123], v[154:155]
	v_fma_f64 v[130:131], v[16:17], v[130:131], v[164:165]
	;; [unrolled: 1-line block ×3, first 2 shown]
	v_fma_f64 v[154:155], v[12:13], v[140:141], -v[14:15]
	v_fma_f64 v[58:59], v[60:61], v[144:145], -v[182:183]
	v_add_f64 v[174:175], v[172:173], -v[54:55]
	v_add_f64 v[170:171], v[148:149], v[56:57]
	v_mul_f64 v[4:5], v[178:179], s[0:1]
	v_fma_f64 v[118:119], v[8:9], v[114:115], -v[10:11]
	v_fma_f64 v[132:133], v[16:17], v[128:129], -v[18:19]
	;; [unrolled: 1-line block ×4, first 2 shown]
	v_add_f64 v[180:181], v[168:169], -v[50:51]
	v_add_f64 v[108:109], v[154:155], -v[58:59]
	v_add_f64 v[158:159], v[130:131], v[62:63]
	v_mul_f64 v[6:7], v[170:171], s[6:7]
	v_fma_f64 v[8:9], v[174:175], s[4:5], v[4:5]
	v_mul_f64 v[26:27], v[26:27], v[102:103]
	v_fma_f64 v[110:111], v[24:25], v[102:103], v[110:111]
	v_add_f64 v[176:177], v[172:173], v[54:55]
	v_add_f64 v[126:127], v[148:149], -v[56:57]
	v_add_f64 v[102:103], v[132:133], -v[52:53]
	v_add_f64 v[156:157], v[116:117], v[64:65]
	v_mul_f64 v[10:11], v[180:181], s[8:9]
	v_mul_f64 v[12:13], v[158:159], s[12:13]
	v_fma_f64 v[14:15], v[108:109], s[20:21], v[6:7]
	v_add_f64 v[8:9], v[2:3], v[8:9]
	v_mul_f64 v[160:161], v[22:23], v[84:85]
	v_mul_f64 v[162:163], v[46:47], v[88:89]
	v_fma_f64 v[112:113], v[24:25], v[100:101], -v[26:27]
	v_add_f64 v[106:107], v[154:155], v[58:59]
	v_add_f64 v[124:125], v[130:131], -v[62:63]
	v_add_f64 v[100:101], v[118:119], -v[48:49]
	v_add_f64 v[128:129], v[110:111], v[66:67]
	v_mul_f64 v[16:17], v[126:127], s[10:11]
	v_mul_f64 v[18:19], v[156:157], s[22:23]
	v_fma_f64 v[24:25], v[176:177], s[0:1], v[10:11]
	v_fma_f64 v[26:27], v[102:103], s[18:19], v[12:13]
	v_add_f64 v[8:9], v[14:15], v[8:9]
	v_mul_f64 v[152:153], v[42:43], v[80:81]
	v_mul_f64 v[42:43], v[42:43], v[82:83]
	v_mul_f64 v[22:23], v[22:23], v[86:87]
	v_mul_f64 v[46:47], v[46:47], v[90:91]
	v_add_f64 v[104:105], v[132:133], v[52:53]
	v_add_f64 v[60:61], v[112:113], -v[70:71]
	v_mul_f64 v[14:15], v[124:125], s[14:15]
	v_mul_f64 v[36:37], v[128:129], s[16:17]
	v_fma_f64 v[38:39], v[106:107], s[6:7], v[16:17]
	v_fma_f64 v[114:115], v[100:101], s[24:25], v[18:19]
	v_add_f64 v[24:25], v[0:1], v[24:25]
	v_add_f64 v[8:9], v[26:27], v[8:9]
	v_fma_f64 v[122:123], v[32:33], v[76:77], -v[34:35]
	v_fma_f64 v[142:143], v[20:21], v[86:87], v[160:161]
	v_fma_f64 v[76:77], v[44:45], v[90:91], v[162:163]
	v_add_f64 v[138:139], v[116:117], -v[64:65]
	v_fma_f64 v[120:121], v[32:33], v[78:79], v[150:151]
	v_fma_f64 v[26:27], v[104:105], s[12:13], v[14:15]
	v_fma_f64 v[32:33], v[60:61], s[26:27], v[36:37]
	v_add_f64 v[24:25], v[38:39], v[24:25]
	v_add_f64 v[8:9], v[114:115], v[8:9]
	v_fma_f64 v[82:83], v[40:41], v[82:83], v[152:153]
	v_fma_f64 v[86:87], v[40:41], v[80:81], -v[42:43]
	v_fma_f64 v[150:151], v[20:21], v[84:85], -v[22:23]
	v_add_f64 v[152:153], v[142:143], v[76:77]
	v_fma_f64 v[80:81], v[44:45], v[88:89], -v[46:47]
	v_add_f64 v[84:85], v[118:119], v[48:49]
	v_mul_f64 v[22:23], v[138:139], s[30:31]
	v_add_f64 v[144:145], v[110:111], -v[66:67]
	v_add_f64 v[20:21], v[26:27], v[24:25]
	v_add_f64 v[8:9], v[32:33], v[8:9]
	;; [unrolled: 1-line block ×3, first 2 shown]
	v_mul_f64 v[24:25], v[152:153], s[36:37]
	v_add_f64 v[78:79], v[150:151], -v[80:81]
	v_add_f64 v[90:91], v[112:113], v[70:71]
	v_fma_f64 v[26:27], v[84:85], s[22:23], v[22:23]
	v_mul_f64 v[32:33], v[144:145], s[28:29]
	v_add_f64 v[134:135], v[142:143], -v[76:77]
	v_fma_f64 v[4:5], v[174:175], s[8:9], v[4:5]
	v_fma_f64 v[10:11], v[176:177], s[0:1], -v[10:11]
	v_mul_f64 v[38:39], v[140:141], s[34:35]
	v_fma_f64 v[34:35], v[78:79], s[38:39], v[24:25]
	v_add_f64 v[88:89], v[122:123], -v[86:87]
	v_add_f64 v[20:21], v[26:27], v[20:21]
	v_fma_f64 v[26:27], v[90:91], s[16:17], v[32:33]
	v_add_f64 v[114:115], v[150:151], v[80:81]
	v_mul_f64 v[40:41], v[134:135], s[48:49]
	v_add_f64 v[136:137], v[120:121], -v[82:83]
	v_fma_f64 v[6:7], v[108:109], s[10:11], v[6:7]
	v_add_f64 v[4:5], v[2:3], v[4:5]
	v_fma_f64 v[16:17], v[106:107], s[6:7], -v[16:17]
	v_add_f64 v[10:11], v[0:1], v[10:11]
	v_fma_f64 v[146:147], v[28:29], v[68:69], -v[30:31]
	v_add_f64 v[8:9], v[34:35], v[8:9]
	v_fma_f64 v[28:29], v[88:89], s[42:43], v[38:39]
	v_add_f64 v[20:21], v[26:27], v[20:21]
	v_fma_f64 v[26:27], v[114:115], s[36:37], v[40:41]
	v_add_f64 v[68:69], v[122:123], v[86:87]
	v_mul_f64 v[30:31], v[136:137], s[40:41]
	v_add_f64 v[162:163], v[74:75], v[72:73]
	v_add_f64 v[4:5], v[6:7], v[4:5]
	v_fma_f64 v[6:7], v[102:103], s[14:15], v[12:13]
	v_add_f64 v[10:11], v[16:17], v[10:11]
	v_fma_f64 v[12:13], v[104:105], s[12:13], -v[14:15]
	v_add_f64 v[8:9], v[28:29], v[8:9]
	v_add_f64 v[20:21], v[26:27], v[20:21]
	v_fma_f64 v[26:27], v[68:69], s[34:35], v[30:31]
	v_mul_f64 v[28:29], v[162:163], s[44:45]
	v_add_f64 v[160:161], v[98:99], -v[146:147]
	v_add_f64 v[4:5], v[6:7], v[4:5]
	v_fma_f64 v[6:7], v[100:101], s[30:31], v[18:19]
	v_add_f64 v[10:11], v[12:13], v[10:11]
	v_fma_f64 v[12:13], v[84:85], s[22:23], -v[22:23]
	v_add_f64 v[166:167], v[74:75], -v[72:73]
	v_add_f64 v[14:15], v[26:27], v[20:21]
	v_mul_f64 v[20:21], v[178:179], s[12:13]
	v_fma_f64 v[16:17], v[160:161], s[46:47], v[28:29]
	v_fma_f64 v[22:23], v[60:61], s[28:29], v[36:37]
	v_add_f64 v[4:5], v[6:7], v[4:5]
	v_mul_f64 v[26:27], v[180:181], s[14:15]
	v_add_f64 v[10:11], v[12:13], v[10:11]
	v_fma_f64 v[12:13], v[90:91], s[16:17], -v[32:33]
	v_add_f64 v[164:165], v[98:99], v[146:147]
	v_mul_f64 v[18:19], v[166:167], s[50:51]
	v_add_f64 v[6:7], v[16:17], v[8:9]
	v_fma_f64 v[16:17], v[174:175], s[18:19], v[20:21]
	v_mul_f64 v[32:33], v[170:171], s[36:37]
	v_add_f64 v[4:5], v[22:23], v[4:5]
	v_fma_f64 v[22:23], v[78:79], s[48:49], v[24:25]
	v_add_f64 v[10:11], v[12:13], v[10:11]
	v_fma_f64 v[12:13], v[176:177], s[12:13], v[26:27]
	v_mul_f64 v[24:25], v[126:127], s[48:49]
	v_fma_f64 v[8:9], v[164:165], s[44:45], v[18:19]
	v_fma_f64 v[34:35], v[114:115], s[36:37], -v[40:41]
	v_add_f64 v[16:17], v[2:3], v[16:17]
	v_fma_f64 v[36:37], v[108:109], s[38:39], v[32:33]
	v_mul_f64 v[40:41], v[158:159], s[44:45]
	v_mul_f64 v[44:45], v[124:125], s[46:47]
	v_add_f64 v[12:13], v[0:1], v[12:13]
	v_fma_f64 v[42:43], v[106:107], s[36:37], v[24:25]
	v_add_f64 v[22:23], v[22:23], v[4:5]
	v_fma_f64 v[38:39], v[88:89], s[40:41], v[38:39]
	v_add_f64 v[10:11], v[34:35], v[10:11]
	v_add_f64 v[16:17], v[36:37], v[16:17]
	v_fma_f64 v[34:35], v[102:103], s[50:51], v[40:41]
	v_mul_f64 v[36:37], v[156:157], s[16:17]
	v_fma_f64 v[30:31], v[68:69], s[34:35], -v[30:31]
	v_add_f64 v[4:5], v[8:9], v[14:15]
	v_add_f64 v[8:9], v[42:43], v[12:13]
	v_fma_f64 v[12:13], v[104:105], s[44:45], v[44:45]
	v_mul_f64 v[14:15], v[138:139], s[26:27]
	v_add_f64 v[22:23], v[38:39], v[22:23]
	v_add_f64 v[16:17], v[34:35], v[16:17]
	v_fma_f64 v[34:35], v[100:101], s[28:29], v[36:37]
	v_add_f64 v[30:31], v[30:31], v[10:11]
	v_mul_f64 v[38:39], v[128:129], s[6:7]
	v_fma_f64 v[10:11], v[160:161], s[50:51], v[28:29]
	v_add_f64 v[8:9], v[12:13], v[8:9]
	v_fma_f64 v[12:13], v[84:85], s[16:17], v[14:15]
	v_mul_f64 v[28:29], v[144:145], s[20:21]
	v_fma_f64 v[20:21], v[174:175], s[14:15], v[20:21]
	v_fma_f64 v[18:19], v[164:165], s[44:45], -v[18:19]
	v_add_f64 v[16:17], v[34:35], v[16:17]
	v_fma_f64 v[34:35], v[60:61], s[10:11], v[38:39]
	v_mul_f64 v[42:43], v[152:153], s[0:1]
	v_add_f64 v[10:11], v[10:11], v[22:23]
	v_add_f64 v[12:13], v[12:13], v[8:9]
	v_fma_f64 v[22:23], v[90:91], s[6:7], v[28:29]
	v_mul_f64 v[46:47], v[134:135], s[8:9]
	v_fma_f64 v[32:33], v[108:109], s[48:49], v[32:33]
	v_add_f64 v[20:21], v[2:3], v[20:21]
	v_add_f64 v[16:17], v[34:35], v[16:17]
	v_fma_f64 v[34:35], v[78:79], s[4:5], v[42:43]
	v_add_f64 v[8:9], v[18:19], v[30:31]
	v_mul_f64 v[18:19], v[140:141], s[22:23]
	v_fma_f64 v[26:27], v[176:177], s[12:13], -v[26:27]
	v_add_f64 v[12:13], v[22:23], v[12:13]
	v_fma_f64 v[22:23], v[114:115], s[0:1], v[46:47]
	v_add_f64 v[20:21], v[32:33], v[20:21]
	v_fma_f64 v[30:31], v[102:103], s[46:47], v[40:41]
	v_add_f64 v[16:17], v[34:35], v[16:17]
	v_mul_f64 v[32:33], v[136:137], s[30:31]
	v_fma_f64 v[24:25], v[106:107], s[36:37], -v[24:25]
	v_add_f64 v[26:27], v[0:1], v[26:27]
	v_fma_f64 v[34:35], v[88:89], s[24:25], v[18:19]
	v_add_f64 v[12:13], v[22:23], v[12:13]
	v_mul_f64 v[22:23], v[162:163], s[34:35]
	v_add_f64 v[20:21], v[30:31], v[20:21]
	v_fma_f64 v[30:31], v[100:101], s[26:27], v[36:37]
	v_fma_f64 v[36:37], v[68:69], s[22:23], v[32:33]
	v_mul_f64 v[40:41], v[166:167], s[40:41]
	v_add_f64 v[24:25], v[24:25], v[26:27]
	v_fma_f64 v[26:27], v[104:105], s[44:45], -v[44:45]
	v_add_f64 v[16:17], v[34:35], v[16:17]
	v_fma_f64 v[34:35], v[160:161], s[42:43], v[22:23]
	v_mul_f64 v[44:45], v[178:179], s[16:17]
	v_add_f64 v[20:21], v[30:31], v[20:21]
	v_fma_f64 v[30:31], v[60:61], s[20:21], v[38:39]
	v_add_f64 v[12:13], v[36:37], v[12:13]
	v_fma_f64 v[36:37], v[164:165], s[34:35], v[40:41]
	v_add_f64 v[24:25], v[26:27], v[24:25]
	v_fma_f64 v[26:27], v[84:85], s[16:17], -v[14:15]
	v_add_f64 v[14:15], v[34:35], v[16:17]
	v_fma_f64 v[16:17], v[174:175], s[26:27], v[44:45]
	v_mul_f64 v[34:35], v[170:171], s[34:35]
	v_add_f64 v[20:21], v[30:31], v[20:21]
	v_fma_f64 v[30:31], v[78:79], s[8:9], v[42:43]
	v_mul_f64 v[38:39], v[180:181], s[28:29]
	v_add_f64 v[12:13], v[36:37], v[12:13]
	v_add_f64 v[24:25], v[26:27], v[24:25]
	v_fma_f64 v[26:27], v[90:91], s[6:7], -v[28:29]
	v_add_f64 v[16:17], v[2:3], v[16:17]
	v_fma_f64 v[28:29], v[108:109], s[40:41], v[34:35]
	v_mul_f64 v[36:37], v[158:159], s[6:7]
	v_add_f64 v[20:21], v[30:31], v[20:21]
	v_fma_f64 v[30:31], v[176:177], s[16:17], v[38:39]
	v_mul_f64 v[42:43], v[126:127], s[42:43]
	v_fma_f64 v[18:19], v[88:89], s[30:31], v[18:19]
	v_add_f64 v[24:25], v[26:27], v[24:25]
	v_fma_f64 v[26:27], v[114:115], s[0:1], -v[46:47]
	v_add_f64 v[16:17], v[28:29], v[16:17]
	v_fma_f64 v[28:29], v[102:103], s[10:11], v[36:37]
	v_mul_f64 v[46:47], v[156:157], s[12:13]
	v_add_f64 v[30:31], v[0:1], v[30:31]
	v_fma_f64 v[182:183], v[106:107], s[34:35], v[42:43]
	v_mul_f64 v[184:185], v[124:125], s[20:21]
	v_add_f64 v[18:19], v[18:19], v[20:21]
	v_add_f64 v[20:21], v[26:27], v[24:25]
	v_fma_f64 v[24:25], v[68:69], s[22:23], -v[32:33]
	v_add_f64 v[16:17], v[28:29], v[16:17]
	v_fma_f64 v[26:27], v[100:101], s[18:19], v[46:47]
	v_mul_f64 v[28:29], v[128:129], s[44:45]
	v_add_f64 v[30:31], v[182:183], v[30:31]
	v_fma_f64 v[32:33], v[104:105], s[6:7], v[184:185]
	v_mul_f64 v[182:183], v[138:139], s[14:15]
	v_fma_f64 v[22:23], v[160:161], s[40:41], v[22:23]
	v_add_f64 v[20:21], v[24:25], v[20:21]
	v_fma_f64 v[24:25], v[164:165], s[34:35], -v[40:41]
	v_add_f64 v[26:27], v[26:27], v[16:17]
	v_fma_f64 v[16:17], v[174:175], s[28:29], v[44:45]
	v_fma_f64 v[40:41], v[60:61], s[46:47], v[28:29]
	v_add_f64 v[30:31], v[32:33], v[30:31]
	v_fma_f64 v[32:33], v[84:85], s[12:13], v[182:183]
	v_add_f64 v[18:19], v[22:23], v[18:19]
	v_mul_f64 v[22:23], v[144:145], s[50:51]
	v_mul_f64 v[44:45], v[152:153], s[22:23]
	v_fma_f64 v[34:35], v[108:109], s[42:43], v[34:35]
	v_add_f64 v[186:187], v[2:3], v[16:17]
	v_add_f64 v[16:17], v[24:25], v[20:21]
	;; [unrolled: 1-line block ×4, first 2 shown]
	v_fma_f64 v[26:27], v[176:177], s[16:17], -v[38:39]
	v_fma_f64 v[30:31], v[90:91], s[44:45], v[22:23]
	v_mul_f64 v[32:33], v[134:135], s[24:25]
	v_fma_f64 v[38:39], v[78:79], s[30:31], v[44:45]
	v_add_f64 v[34:35], v[34:35], v[186:187]
	v_fma_f64 v[36:37], v[102:103], s[20:21], v[36:37]
	v_mul_f64 v[40:41], v[140:141], s[0:1]
	v_fma_f64 v[42:43], v[106:107], s[34:35], -v[42:43]
	v_add_f64 v[26:27], v[0:1], v[26:27]
	v_add_f64 v[24:25], v[30:31], v[24:25]
	v_fma_f64 v[30:31], v[114:115], s[22:23], v[32:33]
	v_mul_f64 v[186:187], v[136:137], s[8:9]
	v_add_f64 v[20:21], v[38:39], v[20:21]
	v_add_f64 v[34:35], v[36:37], v[34:35]
	v_fma_f64 v[36:37], v[100:101], s[14:15], v[46:47]
	v_fma_f64 v[38:39], v[88:89], s[4:5], v[40:41]
	v_add_f64 v[26:27], v[42:43], v[26:27]
	v_fma_f64 v[42:43], v[104:105], s[6:7], -v[184:185]
	v_add_f64 v[24:25], v[30:31], v[24:25]
	v_fma_f64 v[30:31], v[68:69], s[0:1], v[186:187]
	v_mul_f64 v[46:47], v[162:163], s[36:37]
	v_mul_f64 v[184:185], v[166:167], s[48:49]
	v_add_f64 v[34:35], v[36:37], v[34:35]
	v_fma_f64 v[28:29], v[60:61], s[50:51], v[28:29]
	v_add_f64 v[20:21], v[38:39], v[20:21]
	v_add_f64 v[26:27], v[42:43], v[26:27]
	v_fma_f64 v[36:37], v[84:85], s[12:13], -v[182:183]
	v_add_f64 v[24:25], v[30:31], v[24:25]
	v_fma_f64 v[30:31], v[160:161], s[38:39], v[46:47]
	v_mul_f64 v[38:39], v[178:179], s[34:35]
	v_fma_f64 v[42:43], v[164:165], s[36:37], v[184:185]
	v_add_f64 v[28:29], v[28:29], v[34:35]
	v_mul_f64 v[34:35], v[180:181], s[40:41]
	v_fma_f64 v[44:45], v[78:79], s[24:25], v[44:45]
	v_add_f64 v[26:27], v[36:37], v[26:27]
	v_fma_f64 v[36:37], v[90:91], s[44:45], -v[22:23]
	v_add_f64 v[22:23], v[30:31], v[20:21]
	v_fma_f64 v[30:31], v[174:175], s[42:43], v[38:39]
	v_mul_f64 v[182:183], v[170:171], s[12:13]
	v_add_f64 v[20:21], v[42:43], v[24:25]
	v_fma_f64 v[24:25], v[176:177], s[34:35], v[34:35]
	v_mul_f64 v[42:43], v[126:127], s[18:19]
	v_add_f64 v[28:29], v[44:45], v[28:29]
	v_add_f64 v[26:27], v[36:37], v[26:27]
	v_fma_f64 v[32:33], v[114:115], s[22:23], -v[32:33]
	v_add_f64 v[30:31], v[2:3], v[30:31]
	v_fma_f64 v[36:37], v[108:109], s[14:15], v[182:183]
	v_mul_f64 v[44:45], v[158:159], s[22:23]
	v_add_f64 v[24:25], v[0:1], v[24:25]
	v_fma_f64 v[188:189], v[106:107], s[12:13], v[42:43]
	v_mul_f64 v[190:191], v[124:125], s[30:31]
	v_fma_f64 v[40:41], v[88:89], s[8:9], v[40:41]
	v_add_f64 v[26:27], v[32:33], v[26:27]
	v_fma_f64 v[32:33], v[68:69], s[0:1], -v[186:187]
	v_add_f64 v[30:31], v[36:37], v[30:31]
	v_fma_f64 v[36:37], v[102:103], s[24:25], v[44:45]
	v_mul_f64 v[186:187], v[156:157], s[36:37]
	v_fma_f64 v[38:39], v[174:175], s[40:41], v[38:39]
	v_fma_f64 v[34:35], v[176:177], s[34:35], -v[34:35]
	v_add_f64 v[24:25], v[188:189], v[24:25]
	v_fma_f64 v[188:189], v[104:105], s[22:23], v[190:191]
	v_mul_f64 v[192:193], v[138:139], s[38:39]
	v_add_f64 v[28:29], v[40:41], v[28:29]
	v_add_f64 v[32:33], v[32:33], v[26:27]
	v_fma_f64 v[26:27], v[160:161], s[48:49], v[46:47]
	v_add_f64 v[30:31], v[36:37], v[30:31]
	v_fma_f64 v[36:37], v[100:101], s[48:49], v[186:187]
	v_mul_f64 v[40:41], v[128:129], s[0:1]
	v_fma_f64 v[182:183], v[108:109], s[18:19], v[182:183]
	v_add_f64 v[38:39], v[2:3], v[38:39]
	v_fma_f64 v[42:43], v[106:107], s[12:13], -v[42:43]
	v_add_f64 v[34:35], v[0:1], v[34:35]
	v_add_f64 v[24:25], v[188:189], v[24:25]
	v_fma_f64 v[46:47], v[84:85], s[36:37], v[192:193]
	v_mul_f64 v[188:189], v[144:145], s[8:9]
	v_fma_f64 v[184:185], v[164:165], s[36:37], -v[184:185]
	v_add_f64 v[26:27], v[26:27], v[28:29]
	v_add_f64 v[28:29], v[36:37], v[30:31]
	v_fma_f64 v[30:31], v[60:61], s[4:5], v[40:41]
	v_mul_f64 v[36:37], v[152:153], s[44:45]
	v_add_f64 v[38:39], v[182:183], v[38:39]
	v_fma_f64 v[44:45], v[102:103], s[30:31], v[44:45]
	v_add_f64 v[34:35], v[42:43], v[34:35]
	v_fma_f64 v[42:43], v[104:105], s[22:23], -v[190:191]
	v_add_f64 v[46:47], v[46:47], v[24:25]
	v_fma_f64 v[194:195], v[90:91], s[0:1], v[188:189]
	v_add_f64 v[24:25], v[184:185], v[32:33]
	v_mul_f64 v[32:33], v[134:135], s[50:51]
	v_add_f64 v[28:29], v[30:31], v[28:29]
	v_fma_f64 v[30:31], v[78:79], s[46:47], v[36:37]
	v_mul_f64 v[184:185], v[140:141], s[6:7]
	v_add_f64 v[38:39], v[44:45], v[38:39]
	v_fma_f64 v[44:45], v[100:101], s[38:39], v[186:187]
	v_add_f64 v[34:35], v[42:43], v[34:35]
	v_fma_f64 v[42:43], v[84:85], s[36:37], -v[192:193]
	v_add_f64 v[46:47], v[194:195], v[46:47]
	v_fma_f64 v[182:183], v[114:115], s[44:45], v[32:33]
	v_mul_f64 v[194:195], v[136:137], s[20:21]
	v_add_f64 v[28:29], v[30:31], v[28:29]
	v_fma_f64 v[30:31], v[88:89], s[10:11], v[184:185]
	v_mul_f64 v[196:197], v[162:163], s[16:17]
	;; [unrolled: 3-line block ×3, first 2 shown]
	v_add_f64 v[34:35], v[42:43], v[34:35]
	v_fma_f64 v[42:43], v[90:91], s[0:1], -v[188:189]
	v_add_f64 v[46:47], v[182:183], v[46:47]
	v_fma_f64 v[182:183], v[68:69], s[6:7], v[194:195]
	v_add_f64 v[28:29], v[30:31], v[28:29]
	v_fma_f64 v[30:31], v[160:161], s[26:27], v[196:197]
	v_mul_f64 v[186:187], v[166:167], s[28:29]
	v_add_f64 v[38:39], v[40:41], v[38:39]
	v_fma_f64 v[40:41], v[174:175], s[50:51], v[44:45]
	v_mul_f64 v[190:191], v[170:171], s[0:1]
	v_fma_f64 v[36:37], v[78:79], s[50:51], v[36:37]
	v_add_f64 v[34:35], v[42:43], v[34:35]
	v_fma_f64 v[32:33], v[114:115], s[44:45], -v[32:33]
	v_add_f64 v[46:47], v[182:183], v[46:47]
	v_add_f64 v[30:31], v[30:31], v[28:29]
	v_fma_f64 v[28:29], v[164:165], s[16:17], v[186:187]
	v_mul_f64 v[182:183], v[180:181], s[46:47]
	v_add_f64 v[40:41], v[2:3], v[40:41]
	v_fma_f64 v[192:193], v[108:109], s[4:5], v[190:191]
	v_mul_f64 v[198:199], v[158:159], s[34:35]
	v_add_f64 v[36:37], v[36:37], v[38:39]
	v_fma_f64 v[184:185], v[88:89], s[20:21], v[184:185]
	v_add_f64 v[32:33], v[32:33], v[34:35]
	v_fma_f64 v[34:35], v[68:69], s[6:7], -v[194:195]
	v_add_f64 v[28:29], v[28:29], v[46:47]
	v_fma_f64 v[46:47], v[176:177], s[44:45], v[182:183]
	v_mul_f64 v[188:189], v[126:127], s[8:9]
	v_add_f64 v[40:41], v[192:193], v[40:41]
	v_fma_f64 v[192:193], v[102:103], s[40:41], v[198:199]
	v_mul_f64 v[200:201], v[156:157], s[6:7]
	v_add_f64 v[36:37], v[184:185], v[36:37]
	v_add_f64 v[32:33], v[34:35], v[32:33]
	v_fma_f64 v[34:35], v[160:161], s[28:29], v[196:197]
	v_add_f64 v[38:39], v[0:1], v[46:47]
	v_fma_f64 v[42:43], v[106:107], s[0:1], v[188:189]
	v_mul_f64 v[46:47], v[124:125], s[42:43]
	v_add_f64 v[40:41], v[192:193], v[40:41]
	v_fma_f64 v[192:193], v[100:101], s[20:21], v[200:201]
	v_mul_f64 v[202:203], v[128:129], s[36:37]
	v_mul_f64 v[194:195], v[138:139], s[10:11]
	v_add_f64 v[34:35], v[34:35], v[36:37]
	v_fma_f64 v[36:37], v[174:175], s[46:47], v[44:45]
	v_add_f64 v[38:39], v[42:43], v[38:39]
	v_fma_f64 v[42:43], v[104:105], s[34:35], v[46:47]
	v_mul_f64 v[196:197], v[152:153], s[12:13]
	v_add_f64 v[40:41], v[192:193], v[40:41]
	v_fma_f64 v[192:193], v[60:61], s[48:49], v[202:203]
	v_fma_f64 v[190:191], v[108:109], s[8:9], v[190:191]
	v_fma_f64 v[182:183], v[176:177], s[44:45], -v[182:183]
	v_add_f64 v[36:37], v[2:3], v[36:37]
	v_mul_f64 v[184:185], v[144:145], s[38:39]
	v_add_f64 v[38:39], v[42:43], v[38:39]
	v_fma_f64 v[42:43], v[84:85], s[6:7], v[194:195]
	v_fma_f64 v[186:187], v[164:165], s[16:17], -v[186:187]
	v_add_f64 v[40:41], v[192:193], v[40:41]
	v_fma_f64 v[192:193], v[78:79], s[18:19], v[196:197]
	v_mul_f64 v[204:205], v[140:141], s[16:17]
	v_fma_f64 v[188:189], v[106:107], s[0:1], -v[188:189]
	v_add_f64 v[182:183], v[0:1], v[182:183]
	v_add_f64 v[36:37], v[190:191], v[36:37]
	v_fma_f64 v[190:191], v[102:103], s[42:43], v[198:199]
	v_add_f64 v[38:39], v[42:43], v[38:39]
	v_fma_f64 v[42:43], v[90:91], s[36:37], v[184:185]
	v_mul_f64 v[44:45], v[134:135], s[14:15]
	v_add_f64 v[40:41], v[192:193], v[40:41]
	v_fma_f64 v[192:193], v[88:89], s[28:29], v[204:205]
	v_add_f64 v[32:33], v[186:187], v[32:33]
	v_add_f64 v[182:183], v[188:189], v[182:183]
	v_fma_f64 v[46:47], v[104:105], s[34:35], -v[46:47]
	v_add_f64 v[36:37], v[190:191], v[36:37]
	v_fma_f64 v[186:187], v[100:101], s[10:11], v[200:201]
	v_add_f64 v[38:39], v[42:43], v[38:39]
	v_fma_f64 v[42:43], v[114:115], s[12:13], v[44:45]
	v_mul_f64 v[206:207], v[136:137], s[26:27]
	v_add_f64 v[40:41], v[192:193], v[40:41]
	v_mul_f64 v[190:191], v[178:179], s[36:37]
	v_add_f64 v[46:47], v[46:47], v[182:183]
	v_fma_f64 v[182:183], v[84:85], s[6:7], -v[194:195]
	v_add_f64 v[36:37], v[186:187], v[36:37]
	v_fma_f64 v[186:187], v[60:61], s[38:39], v[202:203]
	v_mul_f64 v[192:193], v[180:181], s[38:39]
	v_add_f64 v[38:39], v[42:43], v[38:39]
	v_fma_f64 v[42:43], v[68:69], s[16:17], v[206:207]
	v_mul_f64 v[198:199], v[162:163], s[22:23]
	v_fma_f64 v[194:195], v[174:175], s[48:49], v[190:191]
	v_mul_f64 v[200:201], v[170:171], s[16:17]
	v_add_f64 v[46:47], v[182:183], v[46:47]
	v_fma_f64 v[182:183], v[90:91], s[36:37], -v[184:185]
	v_add_f64 v[36:37], v[186:187], v[36:37]
	v_fma_f64 v[184:185], v[176:177], s[36:37], v[192:193]
	v_mul_f64 v[186:187], v[126:127], s[28:29]
	v_add_f64 v[42:43], v[42:43], v[38:39]
	v_fma_f64 v[38:39], v[160:161], s[24:25], v[198:199]
	v_mul_f64 v[188:189], v[166:167], s[30:31]
	v_fma_f64 v[196:197], v[78:79], s[14:15], v[196:197]
	v_add_f64 v[194:195], v[2:3], v[194:195]
	v_fma_f64 v[202:203], v[108:109], s[26:27], v[200:201]
	v_mul_f64 v[208:209], v[158:159], s[0:1]
	v_add_f64 v[46:47], v[182:183], v[46:47]
	v_fma_f64 v[44:45], v[114:115], s[12:13], -v[44:45]
	v_add_f64 v[182:183], v[0:1], v[184:185]
	v_fma_f64 v[184:185], v[106:107], s[16:17], v[186:187]
	v_mul_f64 v[210:211], v[124:125], s[4:5]
	v_add_f64 v[38:39], v[38:39], v[40:41]
	v_fma_f64 v[40:41], v[164:165], s[22:23], v[188:189]
	v_add_f64 v[196:197], v[196:197], v[36:37]
	v_add_f64 v[36:37], v[202:203], v[194:195]
	v_fma_f64 v[194:195], v[102:103], s[8:9], v[208:209]
	v_mul_f64 v[202:203], v[156:157], s[34:35]
	v_add_f64 v[44:45], v[44:45], v[46:47]
	v_add_f64 v[46:47], v[184:185], v[182:183]
	v_fma_f64 v[182:183], v[104:105], s[0:1], v[210:211]
	v_mul_f64 v[184:185], v[138:139], s[42:43]
	v_fma_f64 v[204:205], v[88:89], s[26:27], v[204:205]
	v_fma_f64 v[206:207], v[68:69], s[16:17], -v[206:207]
	v_add_f64 v[194:195], v[194:195], v[36:37]
	v_fma_f64 v[212:213], v[100:101], s[40:41], v[202:203]
	v_mul_f64 v[214:215], v[128:129], s[22:23]
	v_add_f64 v[36:37], v[40:41], v[42:43]
	v_add_f64 v[42:43], v[182:183], v[46:47]
	v_fma_f64 v[46:47], v[84:85], s[34:35], v[184:185]
	v_mul_f64 v[182:183], v[144:145], s[30:31]
	v_add_f64 v[40:41], v[204:205], v[196:197]
	v_add_f64 v[44:45], v[206:207], v[44:45]
	;; [unrolled: 1-line block ×3, first 2 shown]
	v_fma_f64 v[196:197], v[60:61], s[24:25], v[214:215]
	v_mul_f64 v[204:205], v[152:153], s[6:7]
	v_fma_f64 v[198:199], v[160:161], s[30:31], v[198:199]
	v_add_f64 v[46:47], v[46:47], v[42:43]
	v_fma_f64 v[190:191], v[174:175], s[38:39], v[190:191]
	v_fma_f64 v[206:207], v[90:91], s[22:23], v[182:183]
	v_mul_f64 v[212:213], v[134:135], s[20:21]
	v_fma_f64 v[188:189], v[164:165], s[22:23], -v[188:189]
	v_add_f64 v[194:195], v[196:197], v[194:195]
	v_fma_f64 v[196:197], v[78:79], s[10:11], v[204:205]
	v_add_f64 v[42:43], v[198:199], v[40:41]
	v_mul_f64 v[198:199], v[140:141], s[44:45]
	v_fma_f64 v[40:41], v[108:109], s[28:29], v[200:201]
	v_add_f64 v[190:191], v[2:3], v[190:191]
	v_add_f64 v[46:47], v[206:207], v[46:47]
	v_fma_f64 v[200:201], v[114:115], s[6:7], v[212:213]
	v_mul_f64 v[206:207], v[136:137], s[46:47]
	v_add_f64 v[194:195], v[196:197], v[194:195]
	v_fma_f64 v[192:193], v[176:177], s[36:37], -v[192:193]
	v_fma_f64 v[196:197], v[88:89], s[50:51], v[198:199]
	v_mul_f64 v[216:217], v[162:163], s[12:13]
	v_add_f64 v[190:191], v[40:41], v[190:191]
	v_fma_f64 v[208:209], v[102:103], s[4:5], v[208:209]
	v_add_f64 v[46:47], v[200:201], v[46:47]
	v_fma_f64 v[200:201], v[68:69], s[44:45], v[206:207]
	v_fma_f64 v[186:187], v[106:107], s[16:17], -v[186:187]
	v_add_f64 v[192:193], v[0:1], v[192:193]
	v_add_f64 v[194:195], v[196:197], v[194:195]
	v_fma_f64 v[196:197], v[160:161], s[18:19], v[216:217]
	v_add_f64 v[40:41], v[188:189], v[44:45]
	v_add_f64 v[44:45], v[208:209], v[190:191]
	v_fma_f64 v[188:189], v[100:101], s[42:43], v[202:203]
	v_add_f64 v[190:191], v[200:201], v[46:47]
	v_mul_f64 v[200:201], v[178:179], s[22:23]
	v_add_f64 v[186:187], v[186:187], v[192:193]
	v_fma_f64 v[192:193], v[104:105], s[0:1], -v[210:211]
	v_add_f64 v[46:47], v[196:197], v[194:195]
	v_mul_f64 v[196:197], v[180:181], s[24:25]
	v_mul_f64 v[208:209], v[170:171], s[44:45]
	v_add_f64 v[44:45], v[188:189], v[44:45]
	v_fma_f64 v[188:189], v[60:61], s[30:31], v[214:215]
	v_fma_f64 v[202:203], v[174:175], s[30:31], v[200:201]
	v_fma_f64 v[184:185], v[84:85], s[34:35], -v[184:185]
	v_add_f64 v[186:187], v[192:193], v[186:187]
	v_mul_f64 v[214:215], v[126:127], s[46:47]
	v_fma_f64 v[210:211], v[176:177], s[22:23], v[196:197]
	v_mul_f64 v[218:219], v[158:159], s[16:17]
	v_fma_f64 v[182:183], v[90:91], s[22:23], -v[182:183]
	v_add_f64 v[44:45], v[188:189], v[44:45]
	v_add_f64 v[188:189], v[2:3], v[202:203]
	v_fma_f64 v[202:203], v[108:109], s[50:51], v[208:209]
	v_add_f64 v[184:185], v[184:185], v[186:187]
	v_mul_f64 v[220:221], v[124:125], s[28:29]
	v_add_f64 v[186:187], v[0:1], v[210:211]
	v_fma_f64 v[210:211], v[106:107], s[44:45], v[214:215]
	v_fma_f64 v[204:205], v[78:79], s[20:21], v[204:205]
	v_mul_f64 v[222:223], v[156:157], s[0:1]
	v_add_f64 v[168:169], v[2:3], v[168:169]
	v_add_f64 v[188:189], v[202:203], v[188:189]
	v_fma_f64 v[202:203], v[102:103], s[26:27], v[218:219]
	v_add_f64 v[172:173], v[0:1], v[172:173]
	v_mul_f64 v[194:195], v[166:167], s[14:15]
	v_add_f64 v[182:183], v[182:183], v[184:185]
	v_fma_f64 v[184:185], v[114:115], s[6:7], -v[212:213]
	v_add_f64 v[186:187], v[210:211], v[186:187]
	v_fma_f64 v[210:211], v[104:105], s[16:17], v[220:221]
	v_mul_f64 v[212:213], v[138:139], s[8:9]
	v_add_f64 v[204:205], v[204:205], v[44:45]
	v_add_f64 v[44:45], v[202:203], v[188:189]
	v_fma_f64 v[188:189], v[100:101], s[4:5], v[222:223]
	v_mul_f64 v[202:203], v[128:129], s[12:13]
	v_add_f64 v[148:149], v[148:149], v[168:169]
	v_add_f64 v[154:155], v[154:155], v[172:173]
	v_fma_f64 v[192:193], v[164:165], s[12:13], v[194:195]
	v_fma_f64 v[198:199], v[88:89], s[46:47], v[198:199]
	v_add_f64 v[182:183], v[184:185], v[182:183]
	v_add_f64 v[184:185], v[210:211], v[186:187]
	v_fma_f64 v[186:187], v[84:85], s[0:1], v[212:213]
	v_mul_f64 v[210:211], v[144:145], s[18:19]
	v_fma_f64 v[206:207], v[68:69], s[44:45], -v[206:207]
	v_add_f64 v[188:189], v[188:189], v[44:45]
	v_fma_f64 v[224:225], v[60:61], s[14:15], v[202:203]
	v_mul_f64 v[226:227], v[152:153], s[34:35]
	v_add_f64 v[130:131], v[130:131], v[148:149]
	v_add_f64 v[132:133], v[132:133], v[154:155]
	;; [unrolled: 1-line block ×5, first 2 shown]
	v_fma_f64 v[186:187], v[90:91], s[12:13], v[210:211]
	v_mul_f64 v[192:193], v[134:135], s[42:43]
	v_add_f64 v[198:199], v[206:207], v[182:183]
	v_add_f64 v[182:183], v[224:225], v[188:189]
	v_fma_f64 v[188:189], v[78:79], s[40:41], v[226:227]
	v_mul_f64 v[204:205], v[140:141], s[36:37]
	v_fma_f64 v[200:201], v[174:175], s[24:25], v[200:201]
	v_add_f64 v[116:117], v[116:117], v[130:131]
	v_add_f64 v[118:119], v[118:119], v[132:133]
	v_fma_f64 v[206:207], v[160:161], s[14:15], v[216:217]
	v_add_f64 v[184:185], v[186:187], v[184:185]
	v_fma_f64 v[186:187], v[114:115], s[34:35], v[192:193]
	v_mul_f64 v[216:217], v[136:137], s[48:49]
	v_add_f64 v[188:189], v[188:189], v[182:183]
	v_fma_f64 v[224:225], v[88:89], s[38:39], v[204:205]
	v_mul_f64 v[228:229], v[162:163], s[6:7]
	v_add_f64 v[200:201], v[2:3], v[200:201]
	v_fma_f64 v[208:209], v[108:109], s[46:47], v[208:209]
	v_add_f64 v[110:111], v[110:111], v[116:117]
	v_add_f64 v[112:113], v[112:113], v[118:119]
	v_fma_f64 v[194:195], v[164:165], s[12:13], -v[194:195]
	v_add_f64 v[184:185], v[186:187], v[184:185]
	v_fma_f64 v[186:187], v[68:69], s[36:37], v[216:217]
	v_add_f64 v[182:183], v[206:207], v[190:191]
	v_add_f64 v[188:189], v[224:225], v[188:189]
	v_fma_f64 v[190:191], v[160:161], s[20:21], v[228:229]
	v_mul_f64 v[178:179], v[178:179], s[6:7]
	v_add_f64 v[200:201], v[208:209], v[200:201]
	v_fma_f64 v[206:207], v[102:103], s[28:29], v[218:219]
	v_add_f64 v[110:111], v[142:143], v[110:111]
	v_add_f64 v[112:113], v[150:151], v[112:113]
	;; [unrolled: 1-line block ×3, first 2 shown]
	v_mul_f64 v[218:219], v[180:181], s[20:21]
	v_add_f64 v[180:181], v[194:195], v[198:199]
	v_add_f64 v[186:187], v[190:191], v[188:189]
	v_fma_f64 v[188:189], v[176:177], s[22:23], -v[196:197]
	v_fma_f64 v[190:191], v[174:175], s[10:11], v[178:179]
	v_add_f64 v[194:195], v[206:207], v[200:201]
	v_fma_f64 v[196:197], v[100:101], s[8:9], v[222:223]
	v_add_f64 v[110:111], v[120:121], v[110:111]
	v_add_f64 v[112:113], v[122:123], v[112:113]
	v_fma_f64 v[198:199], v[176:177], s[6:7], v[218:219]
	v_fma_f64 v[174:175], v[174:175], s[20:21], v[178:179]
	v_fma_f64 v[176:177], v[176:177], s[6:7], -v[218:219]
	v_add_f64 v[178:179], v[0:1], v[188:189]
	v_add_f64 v[188:189], v[2:3], v[190:191]
	v_fma_f64 v[190:191], v[106:107], s[44:45], -v[214:215]
	v_add_f64 v[194:195], v[196:197], v[194:195]
	v_fma_f64 v[196:197], v[60:61], s[18:19], v[202:203]
	v_mul_f64 v[170:171], v[170:171], s[22:23]
	v_mul_f64 v[126:127], v[126:127], s[24:25]
	v_add_f64 v[74:75], v[74:75], v[110:111]
	v_add_f64 v[98:99], v[98:99], v[112:113]
	;; [unrolled: 1-line block ×6, first 2 shown]
	v_fma_f64 v[194:195], v[78:79], s[42:43], v[226:227]
	v_add_f64 v[0:1], v[0:1], v[176:177]
	v_fma_f64 v[168:169], v[108:109], s[30:31], v[170:171]
	v_mul_f64 v[158:159], v[158:159], s[36:37]
	v_fma_f64 v[116:117], v[106:107], s[22:23], v[126:127]
	v_mul_f64 v[118:119], v[124:125], s[38:39]
	v_fma_f64 v[108:109], v[108:109], s[24:25], v[170:171]
	v_fma_f64 v[106:107], v[106:107], s[22:23], -v[126:127]
	v_add_f64 v[72:73], v[72:73], v[74:75]
	v_add_f64 v[74:75], v[146:147], v[98:99]
	v_fma_f64 v[178:179], v[104:105], s[16:17], -v[220:221]
	v_add_f64 v[176:177], v[194:195], v[190:191]
	v_fma_f64 v[148:149], v[88:89], s[48:49], v[204:205]
	v_add_f64 v[154:155], v[168:169], v[188:189]
	v_fma_f64 v[168:169], v[102:103], s[48:49], v[158:159]
	v_mul_f64 v[156:157], v[156:157], s[44:45]
	v_add_f64 v[116:117], v[116:117], v[198:199]
	v_fma_f64 v[142:143], v[104:105], s[36:37], v[118:119]
	v_mul_f64 v[138:139], v[138:139], s[46:47]
	v_fma_f64 v[102:103], v[102:103], s[38:39], v[158:159]
	v_add_f64 v[2:3], v[108:109], v[2:3]
	v_fma_f64 v[104:105], v[104:105], s[36:37], -v[118:119]
	v_add_f64 v[0:1], v[106:107], v[0:1]
	v_add_f64 v[72:73], v[82:83], v[72:73]
	;; [unrolled: 1-line block ×4, first 2 shown]
	v_fma_f64 v[174:175], v[84:85], s[0:1], -v[212:213]
	v_add_f64 v[130:131], v[148:149], v[176:177]
	v_add_f64 v[132:133], v[168:169], v[154:155]
	v_fma_f64 v[148:149], v[100:101], s[50:51], v[156:157]
	v_mul_f64 v[128:129], v[128:129], s[34:35]
	v_add_f64 v[116:117], v[142:143], v[116:117]
	v_fma_f64 v[120:121], v[84:85], s[44:45], v[138:139]
	v_mul_f64 v[122:123], v[144:145], s[40:41]
	v_fma_f64 v[82:83], v[100:101], s[46:47], v[156:157]
	v_add_f64 v[2:3], v[102:103], v[2:3]
	v_fma_f64 v[84:85], v[84:85], s[44:45], -v[138:139]
	v_add_f64 v[0:1], v[104:105], v[0:1]
	v_add_f64 v[72:73], v[76:77], v[72:73]
	;; [unrolled: 1-line block ×4, first 2 shown]
	v_fma_f64 v[148:149], v[60:61], s[42:43], v[128:129]
	v_add_f64 v[110:111], v[120:121], v[116:117]
	v_mul_f64 v[116:117], v[134:135], s[28:29]
	v_fma_f64 v[60:61], v[60:61], s[40:41], v[128:129]
	v_add_f64 v[2:3], v[82:83], v[2:3]
	v_fma_f64 v[82:83], v[90:91], s[34:35], -v[122:123]
	v_add_f64 v[0:1], v[84:85], v[0:1]
	v_add_f64 v[66:67], v[66:67], v[72:73]
	;; [unrolled: 1-line block ×3, first 2 shown]
	v_mul_f64 v[152:153], v[152:153], s[16:17]
	v_fma_f64 v[112:113], v[90:91], s[34:35], v[122:123]
	v_add_f64 v[172:173], v[174:175], v[172:173]
	v_fma_f64 v[174:175], v[90:91], s[12:13], -v[210:211]
	v_add_f64 v[2:3], v[60:61], v[2:3]
	v_fma_f64 v[60:61], v[114:115], s[16:17], -v[116:117]
	v_add_f64 v[0:1], v[82:83], v[0:1]
	v_add_f64 v[64:65], v[64:65], v[66:67]
	;; [unrolled: 1-line block ×3, first 2 shown]
	v_mul_f64 v[140:141], v[140:141], s[12:13]
	v_add_f64 v[98:99], v[112:113], v[110:111]
	v_fma_f64 v[108:109], v[114:115], s[16:17], v[116:117]
	v_mul_f64 v[110:111], v[136:137], s[14:15]
	v_fma_f64 v[72:73], v[78:79], s[28:29], v[152:153]
	v_add_f64 v[154:155], v[174:175], v[172:173]
	v_fma_f64 v[124:125], v[114:115], s[34:35], -v[192:193]
	v_add_f64 v[132:133], v[148:149], v[132:133]
	v_fma_f64 v[148:149], v[78:79], s[26:27], v[152:153]
	v_add_f64 v[0:1], v[60:61], v[0:1]
	v_add_f64 v[60:61], v[62:63], v[64:65]
	v_add_f64 v[48:49], v[52:53], v[48:49]
	v_fma_f64 v[150:151], v[68:69], s[36:37], -v[216:217]
	v_add_f64 v[86:87], v[108:109], v[98:99]
	v_fma_f64 v[98:99], v[68:69], s[12:13], v[110:111]
	v_mul_f64 v[66:67], v[162:163], s[0:1]
	v_mul_f64 v[70:71], v[166:167], s[8:9]
	v_fma_f64 v[82:83], v[88:89], s[14:15], v[140:141]
	v_add_f64 v[2:3], v[72:73], v[2:3]
	v_fma_f64 v[68:69], v[68:69], s[12:13], -v[110:111]
	v_mul_f64 v[230:231], v[166:167], s[10:11]
	v_add_f64 v[124:125], v[124:125], v[154:155]
	v_add_f64 v[132:133], v[148:149], v[132:133]
	v_fma_f64 v[120:121], v[88:89], s[18:19], v[140:141]
	v_add_f64 v[72:73], v[56:57], v[60:61]
	v_add_f64 v[48:49], v[58:59], v[48:49]
	;; [unrolled: 1-line block ×3, first 2 shown]
	v_fma_f64 v[52:53], v[160:161], s[4:5], v[66:67]
	v_fma_f64 v[62:63], v[164:165], s[0:1], v[70:71]
	;; [unrolled: 1-line block ×3, first 2 shown]
	v_add_f64 v[66:67], v[82:83], v[2:3]
	v_fma_f64 v[70:71], v[164:165], s[0:1], -v[70:71]
	v_add_f64 v[68:69], v[68:69], v[0:1]
	v_add_f64 v[124:125], v[150:151], v[124:125]
	v_fma_f64 v[74:75], v[160:161], s[10:11], v[228:229]
	v_fma_f64 v[78:79], v[164:165], s[6:7], -v[230:231]
	v_add_f64 v[76:77], v[120:121], v[132:133]
	v_fma_f64 v[208:209], v[164:165], s[6:7], v[230:231]
	v_add_f64 v[50:51], v[50:51], v[72:73]
	v_add_f64 v[48:49], v[54:55], v[48:49]
	;; [unrolled: 1-line block ×8, first 2 shown]
	v_mov_b32_e32 v52, s3
	v_add_co_u32_e32 v54, vcc, s2, v94
	v_addc_co_u32_e32 v55, vcc, v52, v95, vcc
	v_lshlrev_b64 v[52:53], 4, v[92:93]
	s_movk_i32 s0, 0x1000
	v_add_co_u32_e32 v52, vcc, v54, v52
	v_addc_co_u32_e32 v53, vcc, v55, v53, vcc
	v_add_f64 v[184:185], v[208:209], v[184:185]
	global_store_dwordx4 v[52:53], v[48:51], off
	global_store_dwordx4 v[52:53], v[60:63], off offset:800
	global_store_dwordx4 v[52:53], v[0:3], off offset:1600
	;; [unrolled: 1-line block ×5, first 2 shown]
	v_add_co_u32_e32 v0, vcc, s0, v52
	v_addc_co_u32_e32 v1, vcc, 0, v53, vcc
	s_movk_i32 s0, 0x2000
	global_store_dwordx4 v[0:1], v[24:27], off offset:704
	global_store_dwordx4 v[0:1], v[16:19], off offset:1504
	;; [unrolled: 1-line block ×5, first 2 shown]
	v_add_co_u32_e32 v0, vcc, s0, v52
	v_addc_co_u32_e32 v1, vcc, 0, v53, vcc
	global_store_dwordx4 v[0:1], v[20:23], off offset:608
	global_store_dwordx4 v[0:1], v[28:31], off offset:1408
	global_store_dwordx4 v[0:1], v[36:39], off offset:2208
	global_store_dwordx4 v[0:1], v[44:47], off offset:3008
	global_store_dwordx4 v[0:1], v[184:187], off offset:3808
	v_add_co_u32_e32 v0, vcc, 0x3000, v52
	v_addc_co_u32_e32 v1, vcc, 0, v53, vcc
	global_store_dwordx4 v[0:1], v[56:59], off offset:512
	s_endpgm
	.section	.rodata,"a",@progbits
	.p2align	6, 0x0
	.amdhsa_kernel fft_rtc_fwd_len850_factors_10_5_17_wgs_85_tpt_85_dp_ip_CI_unitstride_sbrr_dirReg
		.amdhsa_group_segment_fixed_size 0
		.amdhsa_private_segment_fixed_size 0
		.amdhsa_kernarg_size 88
		.amdhsa_user_sgpr_count 6
		.amdhsa_user_sgpr_private_segment_buffer 1
		.amdhsa_user_sgpr_dispatch_ptr 0
		.amdhsa_user_sgpr_queue_ptr 0
		.amdhsa_user_sgpr_kernarg_segment_ptr 1
		.amdhsa_user_sgpr_dispatch_id 0
		.amdhsa_user_sgpr_flat_scratch_init 0
		.amdhsa_user_sgpr_private_segment_size 0
		.amdhsa_uses_dynamic_stack 0
		.amdhsa_system_sgpr_private_segment_wavefront_offset 0
		.amdhsa_system_sgpr_workgroup_id_x 1
		.amdhsa_system_sgpr_workgroup_id_y 0
		.amdhsa_system_sgpr_workgroup_id_z 0
		.amdhsa_system_sgpr_workgroup_info 0
		.amdhsa_system_vgpr_workitem_id 0
		.amdhsa_next_free_vgpr 232
		.amdhsa_next_free_sgpr 52
		.amdhsa_reserve_vcc 1
		.amdhsa_reserve_flat_scratch 0
		.amdhsa_float_round_mode_32 0
		.amdhsa_float_round_mode_16_64 0
		.amdhsa_float_denorm_mode_32 3
		.amdhsa_float_denorm_mode_16_64 3
		.amdhsa_dx10_clamp 1
		.amdhsa_ieee_mode 1
		.amdhsa_fp16_overflow 0
		.amdhsa_exception_fp_ieee_invalid_op 0
		.amdhsa_exception_fp_denorm_src 0
		.amdhsa_exception_fp_ieee_div_zero 0
		.amdhsa_exception_fp_ieee_overflow 0
		.amdhsa_exception_fp_ieee_underflow 0
		.amdhsa_exception_fp_ieee_inexact 0
		.amdhsa_exception_int_div_zero 0
	.end_amdhsa_kernel
	.text
.Lfunc_end0:
	.size	fft_rtc_fwd_len850_factors_10_5_17_wgs_85_tpt_85_dp_ip_CI_unitstride_sbrr_dirReg, .Lfunc_end0-fft_rtc_fwd_len850_factors_10_5_17_wgs_85_tpt_85_dp_ip_CI_unitstride_sbrr_dirReg
                                        ; -- End function
	.section	.AMDGPU.csdata,"",@progbits
; Kernel info:
; codeLenInByte = 11300
; NumSgprs: 56
; NumVgprs: 232
; ScratchSize: 0
; MemoryBound: 1
; FloatMode: 240
; IeeeMode: 1
; LDSByteSize: 0 bytes/workgroup (compile time only)
; SGPRBlocks: 6
; VGPRBlocks: 57
; NumSGPRsForWavesPerEU: 56
; NumVGPRsForWavesPerEU: 232
; Occupancy: 1
; WaveLimiterHint : 1
; COMPUTE_PGM_RSRC2:SCRATCH_EN: 0
; COMPUTE_PGM_RSRC2:USER_SGPR: 6
; COMPUTE_PGM_RSRC2:TRAP_HANDLER: 0
; COMPUTE_PGM_RSRC2:TGID_X_EN: 1
; COMPUTE_PGM_RSRC2:TGID_Y_EN: 0
; COMPUTE_PGM_RSRC2:TGID_Z_EN: 0
; COMPUTE_PGM_RSRC2:TIDIG_COMP_CNT: 0
	.type	__hip_cuid_fc9d8bff4adf59a6,@object ; @__hip_cuid_fc9d8bff4adf59a6
	.section	.bss,"aw",@nobits
	.globl	__hip_cuid_fc9d8bff4adf59a6
__hip_cuid_fc9d8bff4adf59a6:
	.byte	0                               ; 0x0
	.size	__hip_cuid_fc9d8bff4adf59a6, 1

	.ident	"AMD clang version 19.0.0git (https://github.com/RadeonOpenCompute/llvm-project roc-6.4.0 25133 c7fe45cf4b819c5991fe208aaa96edf142730f1d)"
	.section	".note.GNU-stack","",@progbits
	.addrsig
	.addrsig_sym __hip_cuid_fc9d8bff4adf59a6
	.amdgpu_metadata
---
amdhsa.kernels:
  - .args:
      - .actual_access:  read_only
        .address_space:  global
        .offset:         0
        .size:           8
        .value_kind:     global_buffer
      - .offset:         8
        .size:           8
        .value_kind:     by_value
      - .actual_access:  read_only
        .address_space:  global
        .offset:         16
        .size:           8
        .value_kind:     global_buffer
      - .actual_access:  read_only
        .address_space:  global
        .offset:         24
        .size:           8
        .value_kind:     global_buffer
      - .offset:         32
        .size:           8
        .value_kind:     by_value
      - .actual_access:  read_only
        .address_space:  global
        .offset:         40
        .size:           8
        .value_kind:     global_buffer
      - .actual_access:  read_only
        .address_space:  global
        .offset:         48
        .size:           8
        .value_kind:     global_buffer
      - .offset:         56
        .size:           4
        .value_kind:     by_value
      - .actual_access:  read_only
        .address_space:  global
        .offset:         64
        .size:           8
        .value_kind:     global_buffer
      - .actual_access:  read_only
        .address_space:  global
        .offset:         72
        .size:           8
        .value_kind:     global_buffer
      - .address_space:  global
        .offset:         80
        .size:           8
        .value_kind:     global_buffer
    .group_segment_fixed_size: 0
    .kernarg_segment_align: 8
    .kernarg_segment_size: 88
    .language:       OpenCL C
    .language_version:
      - 2
      - 0
    .max_flat_workgroup_size: 85
    .name:           fft_rtc_fwd_len850_factors_10_5_17_wgs_85_tpt_85_dp_ip_CI_unitstride_sbrr_dirReg
    .private_segment_fixed_size: 0
    .sgpr_count:     56
    .sgpr_spill_count: 0
    .symbol:         fft_rtc_fwd_len850_factors_10_5_17_wgs_85_tpt_85_dp_ip_CI_unitstride_sbrr_dirReg.kd
    .uniform_work_group_size: 1
    .uses_dynamic_stack: false
    .vgpr_count:     232
    .vgpr_spill_count: 0
    .wavefront_size: 64
amdhsa.target:   amdgcn-amd-amdhsa--gfx906
amdhsa.version:
  - 1
  - 2
...

	.end_amdgpu_metadata
